;; amdgpu-corpus repo=ROCm/rocFFT kind=compiled arch=gfx1030 opt=O3
	.text
	.amdgcn_target "amdgcn-amd-amdhsa--gfx1030"
	.amdhsa_code_object_version 6
	.protected	fft_rtc_fwd_len2430_factors_10_3_3_3_3_3_wgs_81_tpt_81_halfLds_dp_op_CI_CI_sbrr_dirReg ; -- Begin function fft_rtc_fwd_len2430_factors_10_3_3_3_3_3_wgs_81_tpt_81_halfLds_dp_op_CI_CI_sbrr_dirReg
	.globl	fft_rtc_fwd_len2430_factors_10_3_3_3_3_3_wgs_81_tpt_81_halfLds_dp_op_CI_CI_sbrr_dirReg
	.p2align	8
	.type	fft_rtc_fwd_len2430_factors_10_3_3_3_3_3_wgs_81_tpt_81_halfLds_dp_op_CI_CI_sbrr_dirReg,@function
fft_rtc_fwd_len2430_factors_10_3_3_3_3_3_wgs_81_tpt_81_halfLds_dp_op_CI_CI_sbrr_dirReg: ; @fft_rtc_fwd_len2430_factors_10_3_3_3_3_3_wgs_81_tpt_81_halfLds_dp_op_CI_CI_sbrr_dirReg
; %bb.0:
	s_clause 0x2
	s_load_dwordx4 s[16:19], s[4:5], 0x18
	s_load_dwordx4 s[12:15], s[4:5], 0x0
	;; [unrolled: 1-line block ×3, first 2 shown]
	v_mul_u32_u24_e32 v2, 0x32a, v0
	v_mov_b32_e32 v1, 0
	v_mov_b32_e32 v4, 0
	;; [unrolled: 1-line block ×3, first 2 shown]
	s_waitcnt lgkmcnt(0)
	s_load_dwordx2 s[20:21], s[16:17], 0x0
	s_load_dwordx2 s[2:3], s[18:19], 0x0
	v_cmp_lt_u64_e64 s0, s[14:15], 2
	v_add_nc_u32_sdwa v6, s6, v2 dst_sel:DWORD dst_unused:UNUSED_PAD src0_sel:DWORD src1_sel:WORD_1
	v_mov_b32_e32 v7, v1
	s_and_b32 vcc_lo, exec_lo, s0
	s_cbranch_vccnz .LBB0_8
; %bb.1:
	s_load_dwordx2 s[0:1], s[4:5], 0x10
	v_mov_b32_e32 v4, 0
	v_mov_b32_e32 v5, 0
	s_add_u32 s6, s18, 8
	s_addc_u32 s7, s19, 0
	s_add_u32 s22, s16, 8
	s_addc_u32 s23, s17, 0
	v_mov_b32_e32 v121, v5
	v_mov_b32_e32 v120, v4
	s_mov_b64 s[26:27], 1
	s_waitcnt lgkmcnt(0)
	s_add_u32 s24, s0, 8
	s_addc_u32 s25, s1, 0
.LBB0_2:                                ; =>This Inner Loop Header: Depth=1
	s_load_dwordx2 s[28:29], s[24:25], 0x0
                                        ; implicit-def: $vgpr122_vgpr123
	s_mov_b32 s0, exec_lo
	s_waitcnt lgkmcnt(0)
	v_or_b32_e32 v2, s29, v7
	v_cmpx_ne_u64_e32 0, v[1:2]
	s_xor_b32 s1, exec_lo, s0
	s_cbranch_execz .LBB0_4
; %bb.3:                                ;   in Loop: Header=BB0_2 Depth=1
	v_cvt_f32_u32_e32 v2, s28
	v_cvt_f32_u32_e32 v3, s29
	s_sub_u32 s0, 0, s28
	s_subb_u32 s30, 0, s29
	v_fmac_f32_e32 v2, 0x4f800000, v3
	v_rcp_f32_e32 v2, v2
	v_mul_f32_e32 v2, 0x5f7ffffc, v2
	v_mul_f32_e32 v3, 0x2f800000, v2
	v_trunc_f32_e32 v3, v3
	v_fmac_f32_e32 v2, 0xcf800000, v3
	v_cvt_u32_f32_e32 v3, v3
	v_cvt_u32_f32_e32 v2, v2
	v_mul_lo_u32 v8, s0, v3
	v_mul_hi_u32 v9, s0, v2
	v_mul_lo_u32 v10, s30, v2
	v_add_nc_u32_e32 v8, v9, v8
	v_mul_lo_u32 v9, s0, v2
	v_add_nc_u32_e32 v8, v8, v10
	v_mul_hi_u32 v10, v2, v9
	v_mul_lo_u32 v11, v2, v8
	v_mul_hi_u32 v12, v2, v8
	v_mul_hi_u32 v13, v3, v9
	v_mul_lo_u32 v9, v3, v9
	v_mul_hi_u32 v14, v3, v8
	v_mul_lo_u32 v8, v3, v8
	v_add_co_u32 v10, vcc_lo, v10, v11
	v_add_co_ci_u32_e32 v11, vcc_lo, 0, v12, vcc_lo
	v_add_co_u32 v9, vcc_lo, v10, v9
	v_add_co_ci_u32_e32 v9, vcc_lo, v11, v13, vcc_lo
	v_add_co_ci_u32_e32 v10, vcc_lo, 0, v14, vcc_lo
	v_add_co_u32 v8, vcc_lo, v9, v8
	v_add_co_ci_u32_e32 v9, vcc_lo, 0, v10, vcc_lo
	v_add_co_u32 v2, vcc_lo, v2, v8
	v_add_co_ci_u32_e32 v3, vcc_lo, v3, v9, vcc_lo
	v_mul_hi_u32 v8, s0, v2
	v_mul_lo_u32 v10, s30, v2
	v_mul_lo_u32 v9, s0, v3
	v_add_nc_u32_e32 v8, v8, v9
	v_mul_lo_u32 v9, s0, v2
	v_add_nc_u32_e32 v8, v8, v10
	v_mul_hi_u32 v10, v2, v9
	v_mul_lo_u32 v11, v2, v8
	v_mul_hi_u32 v12, v2, v8
	v_mul_hi_u32 v13, v3, v9
	v_mul_lo_u32 v9, v3, v9
	v_mul_hi_u32 v14, v3, v8
	v_mul_lo_u32 v8, v3, v8
	v_add_co_u32 v10, vcc_lo, v10, v11
	v_add_co_ci_u32_e32 v11, vcc_lo, 0, v12, vcc_lo
	v_add_co_u32 v9, vcc_lo, v10, v9
	v_add_co_ci_u32_e32 v9, vcc_lo, v11, v13, vcc_lo
	v_add_co_ci_u32_e32 v10, vcc_lo, 0, v14, vcc_lo
	v_add_co_u32 v8, vcc_lo, v9, v8
	v_add_co_ci_u32_e32 v9, vcc_lo, 0, v10, vcc_lo
	v_add_co_u32 v8, vcc_lo, v2, v8
	v_add_co_ci_u32_e32 v10, vcc_lo, v3, v9, vcc_lo
	v_mul_hi_u32 v12, v6, v8
	v_mad_u64_u32 v[8:9], null, v7, v8, 0
	v_mad_u64_u32 v[2:3], null, v6, v10, 0
	v_mad_u64_u32 v[10:11], null, v7, v10, 0
	v_add_co_u32 v2, vcc_lo, v12, v2
	v_add_co_ci_u32_e32 v3, vcc_lo, 0, v3, vcc_lo
	v_add_co_u32 v2, vcc_lo, v2, v8
	v_add_co_ci_u32_e32 v2, vcc_lo, v3, v9, vcc_lo
	v_add_co_ci_u32_e32 v3, vcc_lo, 0, v11, vcc_lo
	v_add_co_u32 v8, vcc_lo, v2, v10
	v_add_co_ci_u32_e32 v9, vcc_lo, 0, v3, vcc_lo
	v_mul_lo_u32 v10, s29, v8
	v_mad_u64_u32 v[2:3], null, s28, v8, 0
	v_mul_lo_u32 v11, s28, v9
	v_sub_co_u32 v2, vcc_lo, v6, v2
	v_add3_u32 v3, v3, v11, v10
	v_sub_nc_u32_e32 v10, v7, v3
	v_subrev_co_ci_u32_e64 v10, s0, s29, v10, vcc_lo
	v_add_co_u32 v11, s0, v8, 2
	v_add_co_ci_u32_e64 v12, s0, 0, v9, s0
	v_sub_co_u32 v13, s0, v2, s28
	v_sub_co_ci_u32_e32 v3, vcc_lo, v7, v3, vcc_lo
	v_subrev_co_ci_u32_e64 v10, s0, 0, v10, s0
	v_cmp_le_u32_e32 vcc_lo, s28, v13
	v_cmp_eq_u32_e64 s0, s29, v3
	v_cndmask_b32_e64 v13, 0, -1, vcc_lo
	v_cmp_le_u32_e32 vcc_lo, s29, v10
	v_cndmask_b32_e64 v14, 0, -1, vcc_lo
	v_cmp_le_u32_e32 vcc_lo, s28, v2
	;; [unrolled: 2-line block ×3, first 2 shown]
	v_cndmask_b32_e64 v15, 0, -1, vcc_lo
	v_cmp_eq_u32_e32 vcc_lo, s29, v10
	v_cndmask_b32_e64 v2, v15, v2, s0
	v_cndmask_b32_e32 v10, v14, v13, vcc_lo
	v_add_co_u32 v13, vcc_lo, v8, 1
	v_add_co_ci_u32_e32 v14, vcc_lo, 0, v9, vcc_lo
	v_cmp_ne_u32_e32 vcc_lo, 0, v10
	v_cndmask_b32_e32 v3, v14, v12, vcc_lo
	v_cndmask_b32_e32 v10, v13, v11, vcc_lo
	v_cmp_ne_u32_e32 vcc_lo, 0, v2
	v_cndmask_b32_e32 v123, v9, v3, vcc_lo
	v_cndmask_b32_e32 v122, v8, v10, vcc_lo
.LBB0_4:                                ;   in Loop: Header=BB0_2 Depth=1
	s_andn2_saveexec_b32 s0, s1
	s_cbranch_execz .LBB0_6
; %bb.5:                                ;   in Loop: Header=BB0_2 Depth=1
	v_cvt_f32_u32_e32 v2, s28
	s_sub_i32 s1, 0, s28
	v_mov_b32_e32 v123, v1
	v_rcp_iflag_f32_e32 v2, v2
	v_mul_f32_e32 v2, 0x4f7ffffe, v2
	v_cvt_u32_f32_e32 v2, v2
	v_mul_lo_u32 v3, s1, v2
	v_mul_hi_u32 v3, v2, v3
	v_add_nc_u32_e32 v2, v2, v3
	v_mul_hi_u32 v2, v6, v2
	v_mul_lo_u32 v3, v2, s28
	v_add_nc_u32_e32 v8, 1, v2
	v_sub_nc_u32_e32 v3, v6, v3
	v_subrev_nc_u32_e32 v9, s28, v3
	v_cmp_le_u32_e32 vcc_lo, s28, v3
	v_cndmask_b32_e32 v3, v3, v9, vcc_lo
	v_cndmask_b32_e32 v2, v2, v8, vcc_lo
	v_cmp_le_u32_e32 vcc_lo, s28, v3
	v_add_nc_u32_e32 v8, 1, v2
	v_cndmask_b32_e32 v122, v2, v8, vcc_lo
.LBB0_6:                                ;   in Loop: Header=BB0_2 Depth=1
	s_or_b32 exec_lo, exec_lo, s0
	v_mul_lo_u32 v8, v123, s28
	v_mul_lo_u32 v9, v122, s29
	s_load_dwordx2 s[0:1], s[22:23], 0x0
	v_mad_u64_u32 v[2:3], null, v122, s28, 0
	s_load_dwordx2 s[28:29], s[6:7], 0x0
	s_add_u32 s26, s26, 1
	s_addc_u32 s27, s27, 0
	s_add_u32 s6, s6, 8
	s_addc_u32 s7, s7, 0
	s_add_u32 s22, s22, 8
	v_add3_u32 v3, v3, v9, v8
	v_sub_co_u32 v2, vcc_lo, v6, v2
	s_addc_u32 s23, s23, 0
	s_add_u32 s24, s24, 8
	v_sub_co_ci_u32_e32 v3, vcc_lo, v7, v3, vcc_lo
	s_addc_u32 s25, s25, 0
	s_waitcnt lgkmcnt(0)
	v_mul_lo_u32 v6, s0, v3
	v_mul_lo_u32 v7, s1, v2
	v_mad_u64_u32 v[4:5], null, s0, v2, v[4:5]
	v_mul_lo_u32 v3, s28, v3
	v_mul_lo_u32 v8, s29, v2
	v_mad_u64_u32 v[120:121], null, s28, v2, v[120:121]
	v_cmp_ge_u64_e64 s0, s[26:27], s[14:15]
	v_add3_u32 v5, v7, v5, v6
	v_add3_u32 v121, v8, v121, v3
	s_and_b32 vcc_lo, exec_lo, s0
	s_cbranch_vccnz .LBB0_9
; %bb.7:                                ;   in Loop: Header=BB0_2 Depth=1
	v_mov_b32_e32 v6, v122
	v_mov_b32_e32 v7, v123
	s_branch .LBB0_2
.LBB0_8:
	v_mov_b32_e32 v121, v5
	v_mov_b32_e32 v123, v7
	;; [unrolled: 1-line block ×4, first 2 shown]
.LBB0_9:
	s_load_dwordx2 s[0:1], s[4:5], 0x28
	v_mul_hi_u32 v1, 0x3291620, v0
	s_lshl_b64 s[6:7], s[14:15], 3
                                        ; implicit-def: $vgpr124
                                        ; implicit-def: $vgpr126
                                        ; implicit-def: $vgpr129
                                        ; implicit-def: $vgpr125
                                        ; implicit-def: $vgpr127
                                        ; implicit-def: $vgpr130
                                        ; implicit-def: $vgpr128
                                        ; implicit-def: $vgpr132
                                        ; implicit-def: $vgpr133
                                        ; implicit-def: $vgpr131
	s_add_u32 s4, s18, s6
	s_addc_u32 s5, s19, s7
	s_waitcnt lgkmcnt(0)
	v_cmp_gt_u64_e32 vcc_lo, s[0:1], v[122:123]
	v_cmp_le_u64_e64 s0, s[0:1], v[122:123]
	s_and_saveexec_b32 s1, s0
	s_xor_b32 s0, exec_lo, s1
; %bb.10:
	v_mul_u32_u24_e32 v1, 0x51, v1
                                        ; implicit-def: $vgpr4_vgpr5
	v_sub_nc_u32_e32 v124, v0, v1
                                        ; implicit-def: $vgpr1
                                        ; implicit-def: $vgpr0
	v_add_nc_u32_e32 v126, 0x51, v124
	v_add_nc_u32_e32 v129, 0xa2, v124
	;; [unrolled: 1-line block ×9, first 2 shown]
; %bb.11:
	s_or_saveexec_b32 s1, s0
                                        ; implicit-def: $vgpr2_vgpr3
                                        ; implicit-def: $vgpr26_vgpr27
                                        ; implicit-def: $vgpr10_vgpr11
                                        ; implicit-def: $vgpr30_vgpr31
                                        ; implicit-def: $vgpr18_vgpr19
                                        ; implicit-def: $vgpr38_vgpr39
                                        ; implicit-def: $vgpr14_vgpr15
                                        ; implicit-def: $vgpr34_vgpr35
                                        ; implicit-def: $vgpr22_vgpr23
                                        ; implicit-def: $vgpr6_vgpr7
                                        ; implicit-def: $vgpr42_vgpr43
                                        ; implicit-def: $vgpr50_vgpr51
                                        ; implicit-def: $vgpr66_vgpr67
                                        ; implicit-def: $vgpr54_vgpr55
                                        ; implicit-def: $vgpr70_vgpr71
                                        ; implicit-def: $vgpr62_vgpr63
                                        ; implicit-def: $vgpr78_vgpr79
                                        ; implicit-def: $vgpr58_vgpr59
                                        ; implicit-def: $vgpr74_vgpr75
                                        ; implicit-def: $vgpr46_vgpr47
                                        ; implicit-def: $vgpr82_vgpr83
                                        ; implicit-def: $vgpr86_vgpr87
                                        ; implicit-def: $vgpr90_vgpr91
                                        ; implicit-def: $vgpr94_vgpr95
                                        ; implicit-def: $vgpr98_vgpr99
                                        ; implicit-def: $vgpr102_vgpr103
                                        ; implicit-def: $vgpr114_vgpr115
                                        ; implicit-def: $vgpr118_vgpr119
                                        ; implicit-def: $vgpr110_vgpr111
                                        ; implicit-def: $vgpr106_vgpr107
	s_xor_b32 exec_lo, exec_lo, s1
	s_cbranch_execz .LBB0_13
; %bb.12:
	s_add_u32 s6, s16, s6
	s_addc_u32 s7, s17, s7
	v_mul_u32_u24_e32 v1, 0x51, v1
	s_load_dwordx2 s[6:7], s[6:7], 0x0
	v_lshlrev_b64 v[2:3], 4, v[4:5]
	v_sub_nc_u32_e32 v124, v0, v1
	v_add_nc_u32_e32 v125, 0xf3, v124
	v_add_nc_u32_e32 v128, 0x1e6, v124
	v_mad_u64_u32 v[0:1], null, s20, v124, 0
	v_add_nc_u32_e32 v131, 0x2d9, v124
	v_mad_u64_u32 v[4:5], null, s20, v125, 0
	v_mad_u64_u32 v[6:7], null, s20, v128, 0
	v_add_nc_u32_e32 v18, 0x3cc, v124
	v_mad_u64_u32 v[10:11], null, s21, v124, v[1:2]
	s_waitcnt lgkmcnt(0)
	v_mul_lo_u32 v13, s7, v122
	v_mul_lo_u32 v14, s6, v123
	v_mad_u64_u32 v[8:9], null, s6, v122, 0
	v_mov_b32_e32 v1, v5
	v_mad_u64_u32 v[11:12], null, s20, v131, 0
	v_mov_b32_e32 v5, v7
	v_add_nc_u32_e32 v22, 0x6a5, v124
	v_add_nc_u32_e32 v24, 0x798, v124
	v_add3_u32 v9, v9, v14, v13
	v_mad_u64_u32 v[13:14], null, s21, v125, v[1:2]
	v_mov_b32_e32 v1, v10
	v_mad_u64_u32 v[14:15], null, s20, v18, 0
	v_lshlrev_b64 v[7:8], 4, v[8:9]
	v_mad_u64_u32 v[9:10], null, s21, v128, v[5:6]
	v_mov_b32_e32 v10, v12
	v_mov_b32_e32 v5, v13
	v_lshlrev_b64 v[0:1], 4, v[0:1]
	v_add_co_u32 v12, s0, s8, v7
	v_add_co_ci_u32_e64 v8, s0, s9, v8, s0
	v_mov_b32_e32 v7, v9
	v_add_co_u32 v20, s0, v12, v2
	v_add_co_ci_u32_e64 v21, s0, v8, v3, s0
	v_lshlrev_b64 v[2:3], 4, v[4:5]
	v_mad_u64_u32 v[4:5], null, s21, v131, v[10:11]
	v_add_nc_u32_e32 v10, 0x4bf, v124
	v_lshlrev_b64 v[5:6], 4, v[6:7]
	v_mov_b32_e32 v7, v15
	v_add_co_u32 v0, s0, v20, v0
	v_mad_u64_u32 v[16:17], null, s20, v10, 0
	v_add_co_ci_u32_e64 v1, s0, v21, v1, s0
	v_mov_b32_e32 v12, v4
	v_mad_u64_u32 v[7:8], null, s21, v18, v[7:8]
	v_add_co_u32 v2, s0, v20, v2
	v_add_nc_u32_e32 v18, 0x5b2, v124
	v_add_co_ci_u32_e64 v3, s0, v21, v3, s0
	v_add_co_u32 v4, s0, v20, v5
	v_lshlrev_b64 v[8:9], 4, v[11:12]
	v_add_co_ci_u32_e64 v5, s0, v21, v6, s0
	v_mov_b32_e32 v6, v17
	v_mad_u64_u32 v[12:13], null, s20, v18, 0
	v_mov_b32_e32 v15, v7
	v_add_nc_u32_e32 v26, 0x88b, v124
	v_mad_u64_u32 v[10:11], null, s21, v10, v[6:7]
	v_add_co_u32 v6, s0, v20, v8
	v_add_co_ci_u32_e64 v7, s0, v21, v9, s0
	v_lshlrev_b64 v[8:9], 4, v[14:15]
	v_mad_u64_u32 v[14:15], null, s20, v22, 0
	v_mov_b32_e32 v11, v13
	v_mov_b32_e32 v17, v10
	v_add_nc_u32_e32 v126, 0x51, v124
	v_add_co_u32 v8, s0, v20, v8
	v_mad_u64_u32 v[10:11], null, s21, v18, v[11:12]
	v_mov_b32_e32 v11, v15
	v_mad_u64_u32 v[18:19], null, s20, v24, 0
	v_lshlrev_b64 v[16:17], 4, v[16:17]
	v_add_co_ci_u32_e64 v9, s0, v21, v9, s0
	v_mad_u64_u32 v[22:23], null, s21, v22, v[11:12]
	v_mov_b32_e32 v13, v10
	v_add_co_u32 v10, s0, v20, v16
	v_mov_b32_e32 v16, v19
	v_add_co_ci_u32_e64 v11, s0, v21, v17, s0
	v_mov_b32_e32 v15, v22
	v_mad_u64_u32 v[22:23], null, s20, v26, 0
	v_mad_u64_u32 v[16:17], null, s21, v24, v[16:17]
	;; [unrolled: 1-line block ×3, first 2 shown]
	v_lshlrev_b64 v[12:13], 4, v[12:13]
	v_add_nc_u32_e32 v127, 0x144, v124
	v_mov_b32_e32 v17, v23
	v_lshlrev_b64 v[14:15], 4, v[14:15]
	v_mov_b32_e32 v19, v16
	v_add_nc_u32_e32 v132, 0x237, v124
	v_add_co_u32 v12, s0, v20, v12
	v_mad_u64_u32 v[16:17], null, s21, v26, v[17:18]
	v_lshlrev_b64 v[17:18], 4, v[18:19]
	v_mov_b32_e32 v19, v25
	v_mad_u64_u32 v[26:27], null, s20, v127, 0
	v_add_co_ci_u32_e64 v13, s0, v21, v13, s0
	v_mad_u64_u32 v[28:29], null, s21, v126, v[19:20]
	v_add_co_u32 v14, s0, v20, v14
	v_mov_b32_e32 v23, v16
	v_add_co_ci_u32_e64 v15, s0, v21, v15, s0
	v_add_co_u32 v16, s0, v20, v17
	v_mov_b32_e32 v25, v28
	v_mad_u64_u32 v[28:29], null, s20, v132, 0
	v_add_co_ci_u32_e64 v17, s0, v21, v18, s0
	v_lshlrev_b64 v[18:19], 4, v[22:23]
	v_mov_b32_e32 v22, v27
	v_add_nc_u32_e32 v34, 0x32a, v124
	v_add_nc_u32_e32 v36, 0x41d, v124
	v_add_nc_u32_e32 v38, 0x510, v124
	v_add_nc_u32_e32 v40, 0x603, v124
	v_mad_u64_u32 v[22:23], null, s21, v127, v[22:23]
	v_lshlrev_b64 v[23:24], 4, v[24:25]
	v_mov_b32_e32 v25, v29
	v_mad_u64_u32 v[30:31], null, s20, v34, 0
	v_add_co_u32 v18, s0, v20, v18
	v_mad_u64_u32 v[32:33], null, s21, v132, v[25:26]
	v_mov_b32_e32 v27, v22
	v_add_co_ci_u32_e64 v19, s0, v21, v19, s0
	v_add_co_u32 v22, s0, v20, v23
	v_add_co_ci_u32_e64 v23, s0, v21, v24, s0
	v_mov_b32_e32 v29, v32
	v_mad_u64_u32 v[32:33], null, s20, v36, 0
	v_lshlrev_b64 v[24:25], 4, v[26:27]
	v_mov_b32_e32 v26, v31
	v_add_nc_u32_e32 v42, 0x6f6, v124
	v_add_nc_u32_e32 v44, 0x7e9, v124
	v_add_nc_u32_e32 v46, 0x8dc, v124
	v_add_nc_u32_e32 v129, 0xa2, v124
	v_mad_u64_u32 v[26:27], null, s21, v34, v[26:27]
	v_lshlrev_b64 v[27:28], 4, v[28:29]
	v_mov_b32_e32 v29, v33
	v_mad_u64_u32 v[34:35], null, s20, v38, 0
	v_add_co_u32 v24, s0, v20, v24
	v_mad_u64_u32 v[36:37], null, s21, v36, v[29:30]
	v_mov_b32_e32 v31, v26
	v_add_co_ci_u32_e64 v25, s0, v21, v25, s0
	v_add_co_u32 v26, s0, v20, v27
	v_add_co_ci_u32_e64 v27, s0, v21, v28, s0
	v_mov_b32_e32 v33, v36
	v_mad_u64_u32 v[36:37], null, s20, v40, 0
	;; [unrolled: 18-line block ×3, first 2 shown]
	v_lshlrev_b64 v[32:33], 4, v[34:35]
	v_mov_b32_e32 v34, v39
	v_mad_u64_u32 v[50:51], null, s20, v54, 0
	v_add_nc_u32_e32 v57, 0x561, v124
	v_add_nc_u32_e32 v58, 0x654, v124
	v_mad_u64_u32 v[34:35], null, s21, v42, v[34:35]
	v_lshlrev_b64 v[35:36], 4, v[36:37]
	v_mov_b32_e32 v37, v41
	v_mad_u64_u32 v[42:43], null, s20, v46, 0
	v_add_co_u32 v32, s0, v20, v32
	v_mad_u64_u32 v[44:45], null, s21, v44, v[37:38]
	v_mov_b32_e32 v39, v34
	v_add_co_ci_u32_e64 v33, s0, v21, v33, s0
	v_add_co_u32 v34, s0, v20, v35
	v_add_co_ci_u32_e64 v35, s0, v21, v36, s0
	v_mov_b32_e32 v41, v44
	v_mad_u64_u32 v[44:45], null, s20, v129, 0
	v_lshlrev_b64 v[36:37], 4, v[38:39]
	v_mov_b32_e32 v38, v43
	v_lshlrev_b64 v[40:41], 4, v[40:41]
	v_mad_u64_u32 v[38:39], null, s21, v46, v[38:39]
	v_mov_b32_e32 v39, v45
	v_mad_u64_u32 v[46:47], null, s20, v130, 0
	v_add_co_u32 v36, s0, v20, v36
	v_mad_u64_u32 v[48:49], null, s21, v129, v[39:40]
	v_mov_b32_e32 v43, v38
	v_add_co_ci_u32_e64 v37, s0, v21, v37, s0
	v_add_co_u32 v38, s0, v20, v40
	v_add_co_ci_u32_e64 v39, s0, v21, v41, s0
	v_lshlrev_b64 v[40:41], 4, v[42:43]
	v_mov_b32_e32 v42, v47
	v_mov_b32_e32 v45, v48
	v_mad_u64_u32 v[48:49], null, s20, v133, 0
	v_mad_u64_u32 v[42:43], null, s21, v130, v[42:43]
	v_lshlrev_b64 v[43:44], 4, v[44:45]
	v_add_co_u32 v40, s0, v20, v40
	v_mov_b32_e32 v45, v49
	v_add_co_ci_u32_e64 v41, s0, v21, v41, s0
	v_mov_b32_e32 v47, v42
	v_mov_b32_e32 v42, v51
	v_mad_u64_u32 v[51:52], null, s21, v133, v[45:46]
	v_mad_u64_u32 v[52:53], null, s20, v56, 0
	;; [unrolled: 1-line block ×3, first 2 shown]
	v_add_co_u32 v134, s0, v20, v43
	v_add_co_ci_u32_e64 v135, s0, v21, v44, s0
	v_lshlrev_b64 v[42:43], 4, v[46:47]
	v_mov_b32_e32 v44, v53
	v_mov_b32_e32 v49, v51
	;; [unrolled: 1-line block ×3, first 2 shown]
	v_mad_u64_u32 v[54:55], null, s20, v58, 0
	v_mad_u64_u32 v[44:45], null, s21, v56, v[44:45]
	;; [unrolled: 1-line block ×3, first 2 shown]
	v_add_co_u32 v136, s0, v20, v42
	v_add_co_ci_u32_e64 v137, s0, v21, v43, s0
	v_lshlrev_b64 v[42:43], 4, v[48:49]
	v_lshlrev_b64 v[47:48], 4, v[50:51]
	v_mov_b32_e32 v49, v55
	v_mov_b32_e32 v53, v44
	v_add_nc_u32_e32 v44, 0x747, v124
	v_add_co_u32 v138, s0, v20, v42
	v_mad_u64_u32 v[50:51], null, s21, v57, v[46:47]
	v_add_co_ci_u32_e64 v139, s0, v21, v43, s0
	v_mad_u64_u32 v[42:43], null, s20, v44, 0
	v_lshlrev_b64 v[51:52], 4, v[52:53]
	v_add_nc_u32_e32 v53, 0x92d, v124
	v_mad_u64_u32 v[55:56], null, s21, v58, v[49:50]
	v_add_nc_u32_e32 v58, 0x83a, v124
	v_mov_b32_e32 v46, v50
	v_add_co_u32 v140, s0, v20, v47
	v_add_co_ci_u32_e64 v141, s0, v21, v48, s0
	v_mad_u64_u32 v[56:57], null, s20, v58, 0
	v_mad_u64_u32 v[47:48], null, s20, v53, 0
	;; [unrolled: 1-line block ×3, first 2 shown]
	v_lshlrev_b64 v[45:46], 4, v[45:46]
	v_add_co_u32 v142, s0, v20, v51
	v_mov_b32_e32 v44, v57
	v_add_co_ci_u32_e64 v143, s0, v21, v52, s0
	v_add_co_u32 v144, s0, v20, v45
	v_mad_u64_u32 v[51:52], null, s21, v58, v[44:45]
	v_mov_b32_e32 v44, v48
	v_lshlrev_b64 v[49:50], 4, v[54:55]
	v_lshlrev_b64 v[42:43], 4, v[42:43]
	v_add_co_ci_u32_e64 v145, s0, v21, v46, s0
	v_mad_u64_u32 v[44:45], null, s21, v53, v[44:45]
	v_mov_b32_e32 v57, v51
	v_add_co_u32 v146, s0, v20, v49
	v_add_co_ci_u32_e64 v147, s0, v21, v50, s0
	v_lshlrev_b64 v[45:46], 4, v[56:57]
	v_mov_b32_e32 v48, v44
	v_add_co_u32 v148, s0, v20, v42
	v_add_co_ci_u32_e64 v149, s0, v21, v43, s0
	v_lshlrev_b64 v[42:43], 4, v[47:48]
	v_add_co_u32 v150, s0, v20, v45
	v_add_co_ci_u32_e64 v151, s0, v21, v46, s0
	v_add_co_u32 v152, s0, v20, v42
	v_add_co_ci_u32_e64 v153, s0, v21, v43, s0
	s_clause 0x1d
	global_load_dwordx4 v[104:107], v[0:1], off
	global_load_dwordx4 v[108:111], v[2:3], off
	;; [unrolled: 1-line block ×30, first 2 shown]
.LBB0_13:
	s_or_b32 exec_lo, exec_lo, s1
	s_waitcnt vmcnt(20)
	v_add_f64 v[134:135], v[80:81], v[112:113]
	v_add_f64 v[142:143], v[88:89], v[96:97]
	v_add_f64 v[166:167], v[98:99], -v[90:91]
	v_add_f64 v[168:169], v[90:91], v[98:99]
	v_add_f64 v[170:171], v[82:83], v[114:115]
	v_add_f64 v[178:179], v[114:115], -v[82:83]
	s_mov_b32 s6, 0x134454ff
	s_mov_b32 s7, 0x3fee6f0e
	;; [unrolled: 1-line block ×4, first 2 shown]
	v_add_f64 v[136:137], v[92:93], v[100:101]
	v_add_f64 v[138:139], v[84:85], v[116:117]
	;; [unrolled: 1-line block ×6, first 2 shown]
	v_add_f64 v[152:153], v[116:117], -v[100:101]
	v_add_f64 v[162:163], v[84:85], -v[92:93]
	;; [unrolled: 1-line block ×6, first 2 shown]
	v_fma_f64 v[134:135], v[134:135], -0.5, v[108:109]
	v_fma_f64 v[142:143], v[142:143], -0.5, v[108:109]
	v_add_f64 v[108:109], v[112:113], v[108:109]
	v_add_f64 v[184:185], v[114:115], v[110:111]
	v_add_f64 v[186:187], v[96:97], -v[88:89]
	v_add_f64 v[112:113], v[112:113], -v[80:81]
	v_fma_f64 v[170:171], v[170:171], -0.5, v[110:111]
	v_fma_f64 v[110:111], v[168:169], -0.5, v[110:111]
	s_mov_b32 s14, 0x4755a5e
	s_mov_b32 s15, 0x3fe2cf23
	;; [unrolled: 1-line block ×4, first 2 shown]
	v_add_f64 v[150:151], v[118:119], -v[86:87]
	v_add_f64 v[154:155], v[100:101], -v[116:117]
	;; [unrolled: 1-line block ×10, first 2 shown]
	v_fma_f64 v[196:197], v[166:167], s[6:7], v[134:135]
	v_fma_f64 v[168:169], v[178:179], s[0:1], v[142:143]
	v_add_f64 v[192:193], v[82:83], -v[90:91]
	v_add_f64 v[194:195], v[90:91], -v[82:83]
	v_fma_f64 v[142:143], v[178:179], s[6:7], v[142:143]
	v_fma_f64 v[134:135], v[166:167], s[0:1], v[134:135]
	v_fma_f64 v[136:137], v[136:137], -0.5, v[104:105]
	v_fma_f64 v[104:105], v[138:139], -0.5, v[104:105]
	;; [unrolled: 1-line block ×4, first 2 shown]
	v_add_f64 v[100:101], v[100:101], v[146:147]
	v_add_f64 v[140:141], v[182:183], v[180:181]
	v_fma_f64 v[144:145], v[186:187], s[0:1], v[170:171]
	v_add_f64 v[102:103], v[102:103], v[148:149]
	v_add_f64 v[148:149], v[162:163], v[152:153]
	;; [unrolled: 1-line block ×3, first 2 shown]
	v_fma_f64 v[162:163], v[112:113], s[6:7], v[110:111]
	s_mov_b32 s16, 0x372fe950
	s_mov_b32 s17, 0x3fd3c6ef
	v_add_f64 v[116:117], v[116:117], -v[84:85]
	v_add_f64 v[190:191], v[86:87], -v[94:95]
	v_add_f64 v[154:155], v[164:165], v[154:155]
	v_fma_f64 v[146:147], v[178:179], s[8:9], v[196:197]
	v_fma_f64 v[168:169], v[166:167], s[8:9], v[168:169]
	v_add_f64 v[118:119], v[172:173], v[118:119]
	v_fma_f64 v[164:165], v[186:187], s[6:7], v[170:171]
	v_fma_f64 v[142:143], v[166:167], s[14:15], v[142:143]
	;; [unrolled: 1-line block ×3, first 2 shown]
	v_add_f64 v[96:97], v[96:97], v[108:109]
	v_add_f64 v[98:99], v[98:99], v[184:185]
	v_add_f64 v[108:109], v[194:195], v[114:115]
	v_fma_f64 v[114:115], v[150:151], s[6:7], v[136:137]
	v_fma_f64 v[136:137], v[150:151], s[0:1], v[136:137]
	;; [unrolled: 1-line block ×7, first 2 shown]
	v_add_f64 v[172:173], v[192:193], v[188:189]
	v_add_f64 v[92:93], v[92:93], v[100:101]
	;; [unrolled: 1-line block ×3, first 2 shown]
	v_fma_f64 v[100:101], v[186:187], s[14:15], v[162:163]
	s_mov_b32 s18, 0x9b97f4a8
	s_mov_b32 s19, 0x3fe9e377
	v_fma_f64 v[146:147], v[140:141], s[16:17], v[146:147]
	v_fma_f64 v[102:103], v[152:153], s[16:17], v[168:169]
	s_waitcnt vmcnt(12)
	v_add_f64 v[198:199], v[64:65], v[68:69]
	s_waitcnt vmcnt(10)
	v_add_f64 v[202:203], v[40:41], v[76:77]
	v_fma_f64 v[110:111], v[112:113], s[0:1], v[110:111]
	v_fma_f64 v[162:163], v[116:117], s[0:1], v[138:139]
	;; [unrolled: 1-line block ×5, first 2 shown]
	v_add_f64 v[88:89], v[88:89], v[96:97]
	v_add_f64 v[90:91], v[90:91], v[98:99]
	v_fma_f64 v[96:97], v[158:159], s[14:15], v[114:115]
	v_fma_f64 v[98:99], v[158:159], s[8:9], v[136:137]
	;; [unrolled: 1-line block ×7, first 2 shown]
	v_add_f64 v[84:85], v[84:85], v[92:93]
	v_add_f64 v[150:151], v[86:87], v[94:95]
	v_fma_f64 v[86:87], v[172:173], s[16:17], v[100:101]
	v_add_f64 v[200:201], v[78:79], -v[42:43]
	v_mul_f64 v[140:141], v[146:147], s[16:17]
	v_mul_f64 v[92:93], v[102:103], s[18:19]
	v_fma_f64 v[142:143], v[152:153], s[16:17], v[142:143]
	v_add_f64 v[152:153], v[190:191], v[156:157]
	v_fma_f64 v[110:111], v[186:187], s[8:9], v[110:111]
	v_fma_f64 v[144:145], v[198:199], -0.5, v[72:73]
	v_fma_f64 v[94:95], v[160:161], s[8:9], v[162:163]
	v_fma_f64 v[108:109], v[108:109], s[16:17], v[112:113]
	v_mul_f64 v[112:113], v[134:135], s[16:17]
	v_add_f64 v[80:81], v[80:81], v[88:89]
	v_add_f64 v[82:83], v[82:83], v[90:91]
	v_mul_f64 v[88:89], v[134:135], s[0:1]
	v_fma_f64 v[90:91], v[148:149], s[16:17], v[96:97]
	v_fma_f64 v[98:99], v[148:149], s[16:17], v[98:99]
	;; [unrolled: 1-line block ×6, first 2 shown]
	v_mul_f64 v[104:105], v[116:117], s[16:17]
	v_add_f64 v[106:107], v[42:43], v[78:79]
	v_fma_f64 v[138:139], v[160:161], s[14:15], v[138:139]
	v_add_f64 v[156:157], v[48:49], v[56:57]
	v_fma_f64 v[136:137], v[116:117], s[6:7], -v[140:141]
	v_add_f64 v[116:117], v[70:71], -v[66:67]
	v_fma_f64 v[140:141], v[202:203], -0.5, v[72:73]
	v_fma_f64 v[148:149], v[86:87], s[14:15], -v[92:93]
	v_add_f64 v[92:93], v[66:67], v[70:71]
	v_fma_f64 v[100:101], v[172:173], s[16:17], v[110:111]
	v_mul_f64 v[110:111], v[142:143], s[18:19]
	v_mul_f64 v[142:143], v[142:143], s[8:9]
	;; [unrolled: 1-line block ×3, first 2 shown]
	v_fma_f64 v[154:155], v[152:153], s[16:17], v[94:95]
	v_add_f64 v[94:95], v[52:53], v[60:61]
	v_fma_f64 v[158:159], v[108:109], s[16:17], v[88:89]
	v_add_f64 v[88:89], v[76:77], -v[68:69]
	v_add_f64 v[160:161], v[68:69], -v[76:77]
	;; [unrolled: 1-line block ×4, first 2 shown]
	v_fma_f64 v[166:167], v[200:201], s[6:7], v[144:145]
	v_fma_f64 v[144:145], v[200:201], s[0:1], v[144:145]
	v_add_f64 v[168:169], v[64:65], -v[40:41]
	v_fma_f64 v[106:107], v[106:107], -0.5, v[74:75]
	v_add_f64 v[170:171], v[76:77], -v[40:41]
	v_fma_f64 v[112:113], v[108:109], s[6:7], v[112:113]
	v_fma_f64 v[146:147], v[146:147], s[0:1], -v[104:105]
	v_fma_f64 v[138:139], v[152:153], s[16:17], v[138:139]
	v_fma_f64 v[172:173], v[116:117], s[0:1], v[140:141]
	;; [unrolled: 1-line block ×3, first 2 shown]
	v_fma_f64 v[174:175], v[92:93], -0.5, v[74:75]
	v_add_f64 v[178:179], v[62:63], -v[54:55]
	v_fma_f64 v[110:111], v[100:101], s[14:15], v[110:111]
	v_fma_f64 v[142:143], v[100:101], s[18:19], v[142:143]
	v_add_f64 v[100:101], v[56:57], v[44:45]
	v_fma_f64 v[152:153], v[102:103], s[8:9], -v[86:87]
	v_add_f64 v[180:181], v[58:59], -v[50:51]
	v_fma_f64 v[102:103], v[94:95], -0.5, v[44:45]
	v_fma_f64 v[44:45], v[156:157], -0.5, v[44:45]
	v_add_f64 v[72:73], v[76:77], v[72:73]
	v_add_f64 v[76:77], v[78:79], -v[70:71]
	v_add_f64 v[104:105], v[70:71], -v[78:79]
	v_add_f64 v[156:157], v[42:43], -v[66:67]
	v_add_f64 v[182:183], v[66:67], -v[42:43]
	v_add_f64 v[164:165], v[164:165], v[88:89]
	v_fma_f64 v[166:167], v[116:117], s[14:15], v[166:167]
	v_fma_f64 v[116:117], v[116:117], s[8:9], v[144:145]
	v_add_f64 v[144:145], v[168:169], v[160:161]
	v_fma_f64 v[160:161], v[162:163], s[6:7], v[106:107]
	v_fma_f64 v[106:107], v[162:163], s[0:1], v[106:107]
	v_fma_f64 v[168:169], v[200:201], s[14:15], v[172:173]
	v_fma_f64 v[140:141], v[200:201], s[8:9], v[140:141]
	v_fma_f64 v[172:173], v[170:171], s[0:1], v[174:175]
	v_add_f64 v[92:93], v[80:81], v[84:85]
	v_add_f64 v[86:87], v[84:85], -v[80:81]
	v_fma_f64 v[80:81], v[170:171], s[6:7], v[174:175]
	v_add_f64 v[108:109], v[58:59], v[46:47]
	v_add_f64 v[176:177], v[60:61], v[100:101]
	;; [unrolled: 1-line block ×3, first 2 shown]
	v_add_f64 v[88:89], v[90:91], -v[110:111]
	v_add_f64 v[90:91], v[96:97], -v[112:113]
	v_add_f64 v[100:101], v[96:97], v[112:113]
	v_add_f64 v[110:111], v[56:57], -v[60:61]
	v_add_f64 v[112:113], v[60:61], -v[56:57]
	;; [unrolled: 1-line block ×3, first 2 shown]
	v_add_f64 v[76:77], v[156:157], v[76:77]
	v_add_f64 v[156:157], v[52:53], -v[48:49]
	v_add_f64 v[68:69], v[68:69], v[72:73]
	v_add_f64 v[182:183], v[182:183], v[104:105]
	v_fma_f64 v[184:185], v[180:181], s[6:7], v[102:103]
	v_fma_f64 v[186:187], v[180:181], s[0:1], v[102:103]
	;; [unrolled: 1-line block ×11, first 2 shown]
	v_add_f64 v[78:79], v[78:79], v[74:75]
	v_add_f64 v[102:103], v[114:115], v[136:137]
	v_fma_f64 v[168:169], v[144:145], s[16:17], v[168:169]
	v_add_f64 v[84:85], v[98:99], v[148:149]
	v_add_f64 v[96:97], v[114:115], -v[136:137]
	v_add_f64 v[98:99], v[98:99], -v[148:149]
	v_add_f64 v[114:115], v[62:63], v[108:109]
	v_add_f64 v[140:141], v[174:175], v[110:111]
	;; [unrolled: 1-line block ×5, first 2 shown]
	v_fma_f64 v[144:145], v[178:179], s[14:15], v[184:185]
	v_fma_f64 v[148:149], v[178:179], s[8:9], v[186:187]
	v_add_f64 v[74:75], v[154:155], v[142:143]
	v_fma_f64 v[164:165], v[182:183], s[16:17], v[170:171]
	v_fma_f64 v[156:157], v[180:181], s[14:15], v[188:189]
	;; [unrolled: 1-line block ×4, first 2 shown]
	v_mul_f64 v[162:163], v[166:167], s[18:19]
	v_mul_f64 v[170:171], v[104:105], s[16:17]
	v_fma_f64 v[172:173], v[76:77], s[16:17], v[80:81]
	v_mul_f64 v[174:175], v[106:107], s[18:19]
	v_add_f64 v[116:117], v[52:53], v[176:177]
	v_add_f64 v[136:137], v[70:71], v[78:79]
	v_fma_f64 v[108:109], v[182:183], s[16:17], v[160:161]
	v_mul_f64 v[160:161], v[168:169], s[16:17]
	s_waitcnt vmcnt(7)
	v_add_f64 v[176:177], v[32:33], v[4:5]
	v_add_f64 v[178:179], v[34:35], v[6:7]
	v_add_f64 v[68:69], v[154:155], -v[142:143]
	v_add_f64 v[70:71], v[134:135], -v[158:159]
	v_add_f64 v[76:77], v[134:135], v[158:159]
	v_add_f64 v[82:83], v[150:151], -v[82:83]
	v_add_f64 v[134:135], v[54:55], v[62:63]
	v_add_f64 v[142:143], v[50:51], v[58:59]
	;; [unrolled: 1-line block ×4, first 2 shown]
	v_fma_f64 v[40:41], v[140:141], s[16:17], v[144:145]
	v_fma_f64 v[154:155], v[112:113], s[16:17], v[156:157]
	;; [unrolled: 1-line block ×5, first 2 shown]
	v_fma_f64 v[158:159], v[164:165], s[6:7], -v[170:171]
	v_add_f64 v[78:79], v[118:119], v[146:147]
	v_fma_f64 v[148:149], v[172:173], s[14:15], -v[174:175]
	v_add_f64 v[80:81], v[138:139], v[152:153]
	v_add_f64 v[116:117], v[48:49], v[116:117]
	;; [unrolled: 1-line block ×3, first 2 shown]
	v_fma_f64 v[156:157], v[108:109], s[6:7], v[160:161]
	s_waitcnt vmcnt(5)
	v_add_f64 v[160:161], v[36:37], v[176:177]
	v_add_f64 v[162:163], v[38:39], v[178:179]
	v_add_f64 v[64:65], v[118:119], -v[146:147]
	v_add_f64 v[66:67], v[138:139], -v[152:153]
	;; [unrolled: 1-line block ×8, first 2 shown]
	v_add_f64 v[114:115], v[50:51], v[114:115]
	v_fma_f64 v[134:135], v[134:135], -0.5, v[46:47]
	v_fma_f64 v[142:143], v[142:143], -0.5, v[46:47]
	s_waitcnt vmcnt(0)
	v_add_f64 v[174:175], v[2:3], v[14:15]
	v_add_f64 v[46:47], v[40:41], v[144:145]
	v_add_f64 v[40:41], v[40:41], -v[144:145]
	v_add_f64 v[50:51], v[112:113], v[158:159]
	v_add_f64 v[52:53], v[140:141], v[148:149]
	;; [unrolled: 1-line block ×3, first 2 shown]
	v_add_f64 v[56:57], v[112:113], -v[158:159]
	v_add_f64 v[112:113], v[12:13], v[20:21]
	v_add_f64 v[58:59], v[140:141], -v[148:149]
	v_add_f64 v[140:141], v[0:1], v[12:13]
	v_add_f64 v[136:137], v[42:43], v[136:137]
	v_add_f64 v[44:45], v[150:151], v[116:117]
	v_add_f64 v[42:43], v[154:155], -v[156:157]
	v_add_f64 v[48:49], v[154:155], v[156:157]
	v_add_f64 v[54:55], v[116:117], -v[150:151]
	v_add_f64 v[116:117], v[28:29], v[160:161]
	v_add_f64 v[150:151], v[30:31], v[162:163]
	;; [unrolled: 1-line block ×6, first 2 shown]
	v_add_f64 v[186:187], v[18:19], -v[10:11]
	v_add_f64 v[184:185], v[14:15], -v[2:3]
	v_add_f64 v[156:157], v[38:39], -v[30:31]
	v_add_f64 v[158:159], v[32:33], -v[36:37]
	v_add_f64 v[160:161], v[36:37], -v[32:33]
	v_add_f64 v[162:163], v[30:31], v[38:39]
	v_fma_f64 v[144:145], v[144:145], -0.5, v[20:21]
	v_add_f64 v[36:37], v[36:37], -v[28:29]
	v_add_f64 v[112:113], v[16:17], v[112:113]
	v_add_f64 v[170:171], v[34:35], -v[38:39]
	v_fma_f64 v[20:21], v[140:141], -0.5, v[20:21]
	v_add_f64 v[38:39], v[38:39], -v[34:35]
	v_add_f64 v[176:177], v[34:35], -v[26:27]
	;; [unrolled: 1-line block ×3, first 2 shown]
	v_add_f64 v[34:35], v[26:27], v[34:35]
	v_add_f64 v[182:183], v[24:25], -v[28:29]
	v_add_f64 v[28:29], v[28:29], -v[24:25]
	v_add_f64 v[140:141], v[26:27], -v[30:31]
	v_add_f64 v[154:155], v[18:19], v[154:155]
	v_add_f64 v[30:31], v[30:31], -v[26:27]
	v_add_f64 v[24:25], v[24:25], v[116:117]
	v_fma_f64 v[116:117], v[138:139], s[0:1], v[134:135]
	v_fma_f64 v[134:135], v[138:139], s[6:7], v[134:135]
	v_add_f64 v[26:27], v[26:27], v[150:151]
	v_fma_f64 v[150:151], v[60:61], s[6:7], v[142:143]
	v_fma_f64 v[148:149], v[148:149], -0.5, v[4:5]
	v_fma_f64 v[174:175], v[174:175], -0.5, v[22:23]
	v_add_f64 v[188:189], v[16:17], -v[8:9]
	v_fma_f64 v[4:5], v[178:179], -0.5, v[4:5]
	v_add_f64 v[178:179], v[12:13], -v[16:17]
	;; [unrolled: 2-line block ×3, first 2 shown]
	v_add_f64 v[12:13], v[16:17], -v[12:13]
	v_add_f64 v[16:17], v[0:1], -v[8:9]
	v_add_f64 v[112:113], v[8:9], v[112:113]
	v_add_f64 v[8:9], v[8:9], -v[0:1]
	v_fma_f64 v[192:193], v[186:187], s[0:1], v[20:21]
	v_fma_f64 v[20:21], v[186:187], s[6:7], v[20:21]
	v_fma_f64 v[190:191], v[184:185], s[6:7], v[144:145]
	v_fma_f64 v[144:145], v[184:185], s[0:1], v[144:145]
	v_add_f64 v[154:155], v[10:11], v[154:155]
	v_add_f64 v[118:119], v[146:147], v[118:119]
	v_fma_f64 v[142:143], v[60:61], s[0:1], v[142:143]
	v_fma_f64 v[116:117], v[60:61], s[8:9], v[116:117]
	;; [unrolled: 1-line block ×3, first 2 shown]
	v_add_f64 v[62:63], v[152:153], v[62:63]
	v_fma_f64 v[134:135], v[138:139], s[8:9], v[150:151]
	v_add_f64 v[146:147], v[18:19], -v[14:15]
	v_add_f64 v[150:151], v[10:11], -v[2:3]
	v_fma_f64 v[152:153], v[188:189], s[0:1], v[174:175]
	v_fma_f64 v[162:163], v[162:163], -0.5, v[6:7]
	v_add_f64 v[14:15], v[14:15], -v[18:19]
	v_add_f64 v[10:11], v[2:3], -v[10:11]
	v_fma_f64 v[18:19], v[180:181], s[6:7], v[22:23]
	v_fma_f64 v[22:23], v[180:181], s[0:1], v[22:23]
	;; [unrolled: 1-line block ×3, first 2 shown]
	v_fma_f64 v[6:7], v[34:35], -0.5, v[6:7]
	v_add_f64 v[8:9], v[8:9], v[12:13]
	v_fma_f64 v[12:13], v[184:185], s[14:15], v[192:193]
	v_fma_f64 v[20:21], v[184:185], s[8:9], v[20:21]
	v_add_f64 v[16:17], v[16:17], v[178:179]
	v_fma_f64 v[34:35], v[186:187], s[14:15], v[190:191]
	v_fma_f64 v[144:145], v[186:187], s[8:9], v[144:145]
	v_add_f64 v[112:113], v[0:1], v[112:113]
	v_add_f64 v[178:179], v[2:3], v[154:155]
	v_fma_f64 v[0:1], v[138:139], s[14:15], v[142:143]
	v_fma_f64 v[2:3], v[118:119], s[16:17], v[116:117]
	;; [unrolled: 1-line block ×5, first 2 shown]
	v_add_f64 v[134:135], v[150:151], v[146:147]
	v_fma_f64 v[138:139], v[180:181], s[14:15], v[152:153]
	v_fma_f64 v[142:143], v[176:177], s[0:1], v[148:149]
	;; [unrolled: 1-line block ×3, first 2 shown]
	v_add_f64 v[10:11], v[10:11], v[14:15]
	v_fma_f64 v[14:15], v[188:189], s[14:15], v[18:19]
	v_fma_f64 v[4:5], v[156:157], s[6:7], v[4:5]
	;; [unrolled: 1-line block ×12, first 2 shown]
	v_mul_f64 v[20:21], v[168:169], s[0:1]
	v_add_f64 v[28:29], v[28:29], v[160:161]
	v_add_f64 v[140:141], v[140:141], v[170:171]
	v_mul_f64 v[18:19], v[166:167], s[8:9]
	v_add_f64 v[158:159], v[182:183], v[158:159]
	v_fma_f64 v[60:61], v[156:157], s[14:15], v[60:61]
	v_fma_f64 v[138:139], v[134:135], s[16:17], v[138:139]
	;; [unrolled: 1-line block ×4, first 2 shown]
	v_mul_f64 v[154:155], v[164:165], s[16:17]
	v_fma_f64 v[14:15], v[10:11], s[16:17], v[14:15]
	v_fma_f64 v[4:5], v[176:177], s[8:9], v[4:5]
	;; [unrolled: 1-line block ×6, first 2 shown]
	v_mul_f64 v[150:151], v[12:13], s[16:17]
	v_mul_f64 v[152:153], v[8:9], s[16:17]
	v_mul_f64 v[134:135], v[34:35], s[18:19]
	v_mul_f64 v[156:157], v[16:17], s[18:19]
	v_mul_f64 v[162:163], v[172:173], s[18:19]
	v_add_f64 v[30:31], v[30:31], v[38:39]
	v_fma_f64 v[38:39], v[32:33], s[8:9], v[144:145]
	v_fma_f64 v[6:7], v[32:33], s[14:15], v[6:7]
	v_mul_f64 v[32:33], v[34:35], s[8:9]
	v_fma_f64 v[20:21], v[108:109], s[16:17], v[20:21]
	v_mul_f64 v[12:13], v[12:13], s[0:1]
	;; [unrolled: 2-line block ×3, first 2 shown]
	v_fma_f64 v[142:143], v[158:159], s[16:17], v[142:143]
	v_fma_f64 v[144:145], v[28:29], s[16:17], v[146:147]
	v_fma_f64 v[110:111], v[158:159], s[16:17], v[60:61]
	v_mul_f64 v[108:109], v[14:15], s[18:19]
	v_fma_f64 v[28:29], v[28:29], s[16:17], v[4:5]
	v_fma_f64 v[146:147], v[140:141], s[16:17], v[148:149]
	;; [unrolled: 1-line block ×4, first 2 shown]
	v_fma_f64 v[104:105], v[104:105], s[0:1], -v[154:155]
	v_fma_f64 v[140:141], v[22:23], s[6:7], v[150:151]
	v_fma_f64 v[138:139], v[138:139], s[6:7], -v[152:153]
	v_fma_f64 v[134:135], v[10:11], s[14:15], v[134:135]
	v_fma_f64 v[168:169], v[14:15], s[14:15], -v[156:157]
	v_fma_f64 v[106:107], v[106:107], s[8:9], -v[162:163]
	v_add_f64 v[60:61], v[136:137], v[114:115]
	v_fma_f64 v[38:39], v[30:31], s[16:17], v[38:39]
	v_fma_f64 v[30:31], v[30:31], s[16:17], v[6:7]
	v_fma_f64 v[32:33], v[10:11], s[18:19], v[32:33]
	v_add_f64 v[148:149], v[118:119], v[20:21]
	v_add_f64 v[158:159], v[118:119], -v[20:21]
	v_mul_u32_u24_e32 v20, 10, v124
	v_fma_f64 v[22:23], v[22:23], s[16:17], v[12:13]
	v_fma_f64 v[34:35], v[8:9], s[0:1], -v[34:35]
	v_add_f64 v[62:63], v[2:3], v[18:19]
	v_add_f64 v[10:11], v[24:25], -v[112:113]
	v_fma_f64 v[108:109], v[16:17], s[8:9], -v[108:109]
	v_add_f64 v[156:157], v[2:3], -v[18:19]
	v_add_f64 v[154:155], v[114:115], -v[136:137]
	s_load_dwordx2 s[4:5], s[4:5], 0x0
	v_lshl_add_u32 v115, v125, 3, 0
	v_add_f64 v[150:151], v[0:1], v[104:105]
	v_add_f64 v[4:5], v[144:145], v[140:141]
	;; [unrolled: 1-line block ×3, first 2 shown]
	v_add_f64 v[12:13], v[110:111], -v[134:135]
	v_add_f64 v[8:9], v[142:143], v[168:169]
	v_add_f64 v[14:15], v[144:145], -v[140:141]
	v_add_f64 v[160:161], v[0:1], -v[104:105]
	;; [unrolled: 1-line block ×4, first 2 shown]
	v_lshl_add_u32 v104, v20, 3, 0
	v_mul_i32_i24_e32 v20, 10, v126
	v_add_f64 v[0:1], v[112:113], v[24:25]
	v_add_f64 v[2:3], v[110:111], v[134:135]
	;; [unrolled: 1-line block ×3, first 2 shown]
	v_add_f64 v[162:163], v[116:117], -v[106:107]
	v_lshl_add_u32 v112, v20, 3, 0
	v_mul_i32_i24_e32 v20, 10, v129
	v_mad_i32_i24 v114, 0xffffffb8, v124, v104
	v_and_b32_e32 v106, 0xff, v124
	v_add_f64 v[166:167], v[146:147], v[32:33]
	v_add_f64 v[176:177], v[146:147], -v[32:33]
	v_lshl_add_u32 v113, v20, 3, 0
	ds_write_b128 v104, v[92:95]
	ds_write_b128 v104, v[100:103] offset:16
	ds_write_b128 v104, v[84:87] offset:32
	ds_write_b128 v104, v[88:91] offset:48
	ds_write_b128 v104, v[96:99] offset:64
	ds_write_b128 v112, v[44:47]
	v_add_nc_u32_e32 v118, 0x1800, v114
	v_add_nc_u32_e32 v119, 0x3000, v114
	v_mad_i32_i24 v147, 0xffffffb8, v126, v112
	v_add_nc_u32_e32 v135, 0x3400, v114
	v_add_nc_u32_e32 v136, 0x2000, v114
	;; [unrolled: 1-line block ×3, first 2 shown]
	v_lshl_add_u32 v138, v128, 3, 0
	v_add_nc_u32_e32 v145, 0x4400, v114
	v_mul_lo_u16 v84, 0xcd, v106
	v_and_b32_e32 v107, 0xff, v126
	v_mad_i32_i24 v146, 0xffffffb8, v129, v113
	v_add_nc_u32_e32 v137, 0x3800, v114
	v_lshl_add_u32 v140, v132, 3, 0
	v_add_nc_u32_e32 v134, 0x1c00, v114
	v_lshl_add_u32 v116, v127, 3, 0
	v_lshl_add_u32 v142, v133, 3, 0
	;; [unrolled: 1-line block ×4, first 2 shown]
	v_add_nc_u32_e32 v141, 0x4000, v114
	v_add_f64 v[164:165], v[178:179], v[26:27]
	v_add_f64 v[168:169], v[38:39], v[22:23]
	;; [unrolled: 1-line block ×3, first 2 shown]
	v_add_f64 v[174:175], v[26:27], -v[178:179]
	v_add_f64 v[172:173], v[36:37], v[108:109]
	v_add_f64 v[178:179], v[38:39], -v[22:23]
	v_add_f64 v[180:181], v[30:31], -v[34:35]
	;; [unrolled: 1-line block ×3, first 2 shown]
	ds_write_b128 v112, v[48:51] offset:16
	ds_write_b128 v112, v[52:55] offset:32
	;; [unrolled: 1-line block ×4, first 2 shown]
	ds_write_b128 v113, v[0:3]
	ds_write_b128 v113, v[4:7] offset:16
	ds_write_b128 v113, v[8:11] offset:32
	;; [unrolled: 1-line block ×4, first 2 shown]
	s_waitcnt lgkmcnt(0)
	s_barrier
	buffer_gl0_inv
	ds_read2_b64 v[36:39], v118 offset0:42 offset1:123
	ds_read2_b64 v[32:35], v119 offset0:84 offset1:165
	ds_read_b64 v[56:57], v147
	ds_read_b64 v[54:55], v146
	ds_read2_b64 v[28:31], v134 offset0:76 offset1:157
	ds_read2_b64 v[24:27], v135 offset0:118 offset1:199
	;; [unrolled: 1-line block ×4, first 2 shown]
	ds_read_b64 v[58:59], v114
	ds_read_b64 v[52:53], v115
	;; [unrolled: 1-line block ×4, first 2 shown]
	ds_read2_b64 v[4:7], v139 offset0:16 offset1:97
	v_add_nc_u32_e32 v144, 0x2c00, v114
	ds_read_b64 v[46:47], v138
	ds_read_b64 v[44:45], v140
	;; [unrolled: 1-line block ×4, first 2 shown]
	ds_read2_b64 v[8:11], v141 offset0:58 offset1:139
	ds_read2_b64 v[0:3], v144 offset0:50 offset1:131
	;; [unrolled: 1-line block ×3, first 2 shown]
	s_waitcnt lgkmcnt(0)
	s_barrier
	buffer_gl0_inv
	ds_write_b128 v104, v[72:75]
	ds_write_b128 v104, v[76:79] offset:16
	ds_write_b128 v104, v[80:83] offset:32
	ds_write_b128 v104, v[68:71] offset:48
	v_lshrrev_b16 v109, 11, v84
	ds_write_b128 v104, v[64:67] offset:64
	ds_write_b128 v112, v[60:63]
	v_mul_lo_u16 v61, 0xcd, v107
	ds_write_b128 v112, v[148:151] offset:16
	ds_write_b128 v112, v[152:155] offset:32
	v_and_b32_e32 v105, 0xff, v129
	v_mul_lo_u16 v60, v109, 10
	v_mov_b32_e32 v76, 0xcccd
	v_lshrrev_b16 v108, 11, v61
	v_mov_b32_e32 v104, 5
	ds_write_b128 v112, v[156:159] offset:48
	v_sub_nc_u16 v150, v124, v60
	v_mul_u32_u24_sdwa v61, v125, v76 dst_sel:DWORD dst_unused:UNUSED_PAD src0_sel:WORD_0 src1_sel:DWORD
	v_mul_lo_u16 v60, v108, 10
	v_mul_u32_u24_sdwa v77, v127, v76 dst_sel:DWORD dst_unused:UNUSED_PAD src0_sel:WORD_0 src1_sel:DWORD
	v_mul_u32_u24_sdwa v82, v130, v76 dst_sel:DWORD dst_unused:UNUSED_PAD src0_sel:WORD_0 src1_sel:DWORD
	v_lshlrev_b32_sdwa v68, v104, v150 dst_sel:DWORD dst_unused:UNUSED_PAD src0_sel:DWORD src1_sel:BYTE_0
	v_lshrrev_b32_e32 v111, 19, v61
	v_sub_nc_u16 v149, v126, v60
	v_mul_lo_u16 v60, 0xcd, v105
	v_lshrrev_b32_e32 v154, 19, v77
	v_lshrrev_b32_e32 v155, 19, v82
	v_mul_lo_u16 v74, v111, 10
	v_lshlrev_b32_sdwa v72, v104, v149 dst_sel:DWORD dst_unused:UNUSED_PAD src0_sel:DWORD src1_sel:BYTE_0
	v_lshrrev_b16 v151, 11, v60
	v_mul_lo_u16 v77, v154, 10
	ds_write_b128 v112, v[160:163] offset:64
	ds_write_b128 v113, v[164:167]
	ds_write_b128 v113, v[168:171] offset:16
	v_sub_nc_u16 v110, v125, v74
	ds_write_b128 v113, v[172:175] offset:32
	ds_write_b128 v113, v[176:179] offset:48
	;; [unrolled: 1-line block ×3, first 2 shown]
	v_mul_lo_u16 v73, v151, 10
	s_waitcnt lgkmcnt(0)
	s_barrier
	v_lshlrev_b32_sdwa v90, v104, v110 dst_sel:DWORD dst_unused:UNUSED_PAD src0_sel:DWORD src1_sel:WORD_0
	buffer_gl0_inv
	v_sub_nc_u16 v152, v129, v73
	s_clause 0x3
	global_load_dwordx4 v[60:63], v68, s[12:13]
	global_load_dwordx4 v[64:67], v72, s[12:13]
	global_load_dwordx4 v[68:71], v68, s[12:13] offset:16
	global_load_dwordx4 v[72:75], v72, s[12:13] offset:16
	v_mul_lo_u16 v91, v155, 10
	v_lshlrev_b32_sdwa v86, v104, v152 dst_sel:DWORD dst_unused:UNUSED_PAD src0_sel:DWORD src1_sel:BYTE_0
	v_sub_nc_u16 v156, v127, v77
	global_load_dwordx4 v[82:85], v90, s[12:13]
	v_mul_u32_u24_sdwa v77, v128, v76 dst_sel:DWORD dst_unused:UNUSED_PAD src0_sel:WORD_0 src1_sel:DWORD
	v_sub_nc_u16 v157, v130, v91
	global_load_dwordx4 v[78:81], v86, s[12:13]
	v_lshlrev_b32_sdwa v91, v104, v156 dst_sel:DWORD dst_unused:UNUSED_PAD src0_sel:DWORD src1_sel:WORD_0
	global_load_dwordx4 v[100:103], v90, s[12:13] offset:16
	v_lshrrev_b32_e32 v159, 19, v77
	v_lshlrev_b32_sdwa v77, v104, v157 dst_sel:DWORD dst_unused:UNUSED_PAD src0_sel:DWORD src1_sel:WORD_0
	s_clause 0x1
	global_load_dwordx4 v[86:89], v86, s[12:13] offset:16
	global_load_dwordx4 v[165:168], v91, s[12:13]
	v_mul_u32_u24_sdwa v90, v132, v76 dst_sel:DWORD dst_unused:UNUSED_PAD src0_sel:WORD_0 src1_sel:DWORD
	s_clause 0x2
	global_load_dwordx4 v[173:176], v91, s[12:13] offset:16
	global_load_dwordx4 v[169:172], v77, s[12:13]
	global_load_dwordx4 v[177:180], v77, s[12:13] offset:16
	v_mov_b32_e32 v148, 3
	v_lshrrev_b32_e32 v153, 19, v90
	v_mul_lo_u16 v90, v159, 10
	s_mov_b32 s6, 0xe8584caa
	s_mov_b32 s7, 0x3febb67a
	s_mov_b32 s9, 0xbfebb67a
	v_mul_lo_u16 v92, v153, 10
	v_sub_nc_u16 v160, v128, v90
	v_mul_u32_u24_sdwa v90, v133, v76 dst_sel:DWORD dst_unused:UNUSED_PAD src0_sel:WORD_0 src1_sel:DWORD
	v_mul_u32_u24_sdwa v76, v131, v76 dst_sel:DWORD dst_unused:UNUSED_PAD src0_sel:WORD_0 src1_sel:DWORD
	s_mov_b32 s8, s6
	v_sub_nc_u16 v158, v132, v92
	v_lshlrev_b32_sdwa v91, v104, v160 dst_sel:DWORD dst_unused:UNUSED_PAD src0_sel:DWORD src1_sel:WORD_0
	v_lshrrev_b32_e32 v161, 19, v90
	v_lshrrev_b32_e32 v162, 19, v76
	v_cmp_gt_u32_e64 s0, 9, v124
	v_lshlrev_b32_sdwa v77, v104, v158 dst_sel:DWORD dst_unused:UNUSED_PAD src0_sel:DWORD src1_sel:WORD_0
	s_clause 0x1
	global_load_dwordx4 v[181:184], v91, s[12:13]
	global_load_dwordx4 v[189:192], v91, s[12:13] offset:16
	v_mul_lo_u16 v90, v161, 10
	v_mul_lo_u16 v76, v162, 10
	s_clause 0x1
	global_load_dwordx4 v[185:188], v77, s[12:13]
	global_load_dwordx4 v[193:196], v77, s[12:13] offset:16
	v_sub_nc_u16 v163, v133, v90
	v_sub_nc_u16 v164, v131, v76
	v_lshlrev_b32_sdwa v90, v104, v163 dst_sel:DWORD dst_unused:UNUSED_PAD src0_sel:DWORD src1_sel:WORD_0
	v_lshlrev_b32_sdwa v76, v104, v164 dst_sel:DWORD dst_unused:UNUSED_PAD src0_sel:DWORD src1_sel:WORD_0
	s_clause 0x3
	global_load_dwordx4 v[197:200], v90, s[12:13]
	global_load_dwordx4 v[201:204], v76, s[12:13]
	global_load_dwordx4 v[205:208], v90, s[12:13] offset:16
	global_load_dwordx4 v[209:212], v76, s[12:13] offset:16
	ds_read2_b64 v[90:93], v118 offset0:42 offset1:123
	ds_read2_b64 v[213:216], v119 offset0:84 offset1:165
	;; [unrolled: 1-line block ×6, first 2 shown]
	s_waitcnt vmcnt(19) lgkmcnt(5)
	v_mul_f64 v[76:77], v[90:91], v[62:63]
	v_mul_f64 v[62:63], v[36:37], v[62:63]
	s_waitcnt vmcnt(18)
	v_mul_f64 v[96:97], v[92:93], v[66:67]
	s_waitcnt vmcnt(16) lgkmcnt(4)
	v_mul_f64 v[237:238], v[215:216], v[74:75]
	v_mul_f64 v[66:67], v[38:39], v[66:67]
	;; [unrolled: 1-line block ×4, first 2 shown]
	s_waitcnt vmcnt(15) lgkmcnt(3)
	v_mul_f64 v[241:242], v[219:220], v[84:85]
	v_mul_f64 v[84:85], v[30:31], v[84:85]
	;; [unrolled: 1-line block ×3, first 2 shown]
	s_waitcnt vmcnt(14)
	v_mul_f64 v[239:240], v[217:218], v[80:81]
	v_mul_f64 v[80:81], v[28:29], v[80:81]
	s_waitcnt vmcnt(13) lgkmcnt(2)
	v_mul_f64 v[243:244], v[223:224], v[102:103]
	v_mul_f64 v[102:103], v[26:27], v[102:103]
	v_fma_f64 v[94:95], v[36:37], v[60:61], -v[76:77]
	v_fma_f64 v[98:99], v[90:91], v[60:61], v[62:63]
	s_waitcnt vmcnt(12)
	v_mul_f64 v[62:63], v[221:222], v[88:89]
	v_fma_f64 v[34:35], v[34:35], v[72:73], -v[237:238]
	s_waitcnt vmcnt(9) lgkmcnt(1)
	v_mul_f64 v[237:238], v[227:228], v[171:172]
	v_fma_f64 v[36:37], v[38:39], v[64:65], -v[96:97]
	v_fma_f64 v[38:39], v[92:93], v[64:65], v[66:67]
	v_fma_f64 v[32:33], v[32:33], v[68:69], -v[233:234]
	v_fma_f64 v[96:97], v[213:214], v[68:69], v[70:71]
	v_mul_f64 v[68:69], v[225:226], v[167:168]
	v_mul_f64 v[167:168], v[20:21], v[167:168]
	v_fma_f64 v[64:65], v[219:220], v[82:83], v[84:85]
	s_waitcnt lgkmcnt(0)
	v_mul_f64 v[84:85], v[229:230], v[175:176]
	ds_read2_b64 v[233:236], v139 offset0:16 offset1:97
	v_fma_f64 v[76:77], v[28:29], v[78:79], -v[239:240]
	v_fma_f64 v[60:61], v[30:31], v[82:83], -v[241:242]
	ds_read2_b64 v[28:31], v141 offset0:58 offset1:139
	v_fma_f64 v[90:91], v[215:216], v[72:73], v[74:75]
	ds_read2_b64 v[213:216], v144 offset0:50 offset1:131
	v_mul_f64 v[66:67], v[24:25], v[88:89]
	v_mul_f64 v[171:172], v[22:23], v[171:172]
	v_fma_f64 v[92:93], v[217:218], v[78:79], v[80:81]
	s_waitcnt vmcnt(8)
	v_mul_f64 v[217:218], v[231:232], v[179:180]
	v_mul_f64 v[179:180], v[18:19], v[179:180]
	v_fma_f64 v[88:89], v[24:25], v[86:87], -v[62:63]
	v_fma_f64 v[62:63], v[223:224], v[100:101], v[102:103]
	v_fma_f64 v[78:79], v[22:23], v[169:170], -v[237:238]
	v_mul_f64 v[175:176], v[16:17], v[175:176]
	v_fma_f64 v[70:71], v[26:27], v[100:101], -v[243:244]
	ds_read2_b64 v[24:27], v145 offset0:92 offset1:173
	s_waitcnt vmcnt(7)
	v_mul_f64 v[100:101], v[4:5], v[183:184]
	v_fma_f64 v[72:73], v[20:21], v[165:166], -v[68:69]
	v_fma_f64 v[74:75], v[225:226], v[165:166], v[167:168]
	s_waitcnt vmcnt(5) lgkmcnt(3)
	v_mul_f64 v[102:103], v[235:236], v[187:188]
	v_mul_f64 v[219:220], v[233:234], v[183:184]
	;; [unrolled: 1-line block ×3, first 2 shown]
	s_waitcnt lgkmcnt(2)
	v_mul_f64 v[22:23], v[28:29], v[191:192]
	s_waitcnt vmcnt(4)
	v_mul_f64 v[167:168], v[30:31], v[195:196]
	v_fma_f64 v[84:85], v[16:17], v[173:174], -v[84:85]
	s_waitcnt vmcnt(3) lgkmcnt(1)
	v_mul_f64 v[16:17], v[213:214], v[199:200]
	v_mul_f64 v[20:21], v[6:7], v[187:188]
	v_fma_f64 v[80:81], v[221:222], v[86:87], v[66:67]
	v_fma_f64 v[82:83], v[227:228], v[169:170], v[171:172]
	v_mul_f64 v[169:170], v[10:11], v[195:196]
	v_fma_f64 v[86:87], v[18:19], v[177:178], -v[217:218]
	v_fma_f64 v[66:67], v[231:232], v[177:178], v[179:180]
	v_add_f64 v[18:19], v[94:95], v[32:33]
	s_waitcnt vmcnt(0)
	v_mul_f64 v[187:188], v[14:15], v[211:212]
	s_waitcnt lgkmcnt(0)
	v_mul_f64 v[183:184], v[26:27], v[211:212]
	v_fma_f64 v[68:69], v[229:230], v[173:174], v[175:176]
	v_mul_f64 v[173:174], v[215:216], v[203:204]
	v_fma_f64 v[177:178], v[233:234], v[181:182], v[100:101]
	v_mul_f64 v[175:176], v[2:3], v[203:204]
	v_fma_f64 v[179:180], v[6:7], v[185:186], -v[102:103]
	v_mul_f64 v[6:7], v[24:25], v[207:208]
	v_fma_f64 v[171:172], v[4:5], v[181:182], -v[219:220]
	v_fma_f64 v[191:192], v[8:9], v[189:190], -v[22:23]
	v_add_f64 v[8:9], v[36:37], v[34:35]
	v_mul_f64 v[4:5], v[0:1], v[199:200]
	v_fma_f64 v[102:103], v[28:29], v[189:190], v[165:166]
	v_fma_f64 v[165:166], v[10:11], v[193:194], -v[167:168]
	v_fma_f64 v[167:168], v[0:1], v[197:198], -v[16:17]
	v_add_f64 v[0:1], v[76:77], v[88:89]
	v_mul_f64 v[181:182], v[12:13], v[207:208]
	v_fma_f64 v[185:186], v[235:236], v[185:186], v[20:21]
	v_add_f64 v[20:21], v[58:59], v[94:95]
	v_fma_f64 v[10:11], v[18:19], -0.5, v[58:59]
	v_add_f64 v[16:17], v[98:99], -v[96:97]
	v_add_f64 v[18:19], v[92:93], -v[80:81]
	v_fma_f64 v[183:184], v[14:15], v[209:210], -v[183:184]
	v_add_f64 v[14:15], v[54:55], v[76:77]
	v_fma_f64 v[100:101], v[30:31], v[193:194], v[169:170]
	v_mov_b32_e32 v30, 0xf0
	v_fma_f64 v[173:174], v[2:3], v[201:202], -v[173:174]
	v_lshlrev_b32_sdwa v3, v148, v150 dst_sel:DWORD dst_unused:UNUSED_PAD src0_sel:DWORD src1_sel:BYTE_0
	v_fma_f64 v[187:188], v[26:27], v[209:210], v[187:188]
	v_fma_f64 v[189:190], v[12:13], v[205:206], -v[6:7]
	v_add_f64 v[12:13], v[38:39], -v[90:91]
	v_mul_u32_u24_sdwa v2, v109, v30 dst_sel:DWORD dst_unused:UNUSED_PAD src0_sel:WORD_0 src1_sel:DWORD
	v_fma_f64 v[6:7], v[8:9], -0.5, v[56:57]
	v_add_f64 v[8:9], v[56:57], v[36:37]
	v_add_f64 v[22:23], v[60:61], v[70:71]
	;; [unrolled: 1-line block ×3, first 2 shown]
	v_add3_u32 v209, 0, v2, v3
	v_fma_f64 v[0:1], v[0:1], -0.5, v[54:55]
	v_mul_u32_u24_sdwa v54, v108, v30 dst_sel:DWORD dst_unused:UNUSED_PAD src0_sel:WORD_0 src1_sel:DWORD
	v_lshlrev_b32_sdwa v55, v148, v149 dst_sel:DWORD dst_unused:UNUSED_PAD src0_sel:DWORD src1_sel:BYTE_0
	v_add_f64 v[2:3], v[20:21], v[32:33]
	v_mul_u32_u24_sdwa v56, v151, v30 dst_sel:DWORD dst_unused:UNUSED_PAD src0_sel:WORD_0 src1_sel:DWORD
	v_fma_f64 v[20:21], v[16:17], s[6:7], v[10:11]
	v_fma_f64 v[10:11], v[16:17], s[8:9], v[10:11]
	v_add_f64 v[16:17], v[72:73], v[84:85]
	v_lshlrev_b32_sdwa v57, v148, v152 dst_sel:DWORD dst_unused:UNUSED_PAD src0_sel:DWORD src1_sel:BYTE_0
	v_add3_u32 v210, 0, v54, v55
	v_fma_f64 v[169:170], v[213:214], v[197:198], v[4:5]
	v_fma_f64 v[175:176], v[215:216], v[201:202], v[175:176]
	;; [unrolled: 1-line block ×3, first 2 shown]
	v_add3_u32 v211, 0, v56, v57
	ds_read_b64 v[4:5], v147
	ds_read_b64 v[193:194], v146
	;; [unrolled: 1-line block ×10, first 2 shown]
	v_fma_f64 v[28:29], v[12:13], s[6:7], v[6:7]
	v_add_f64 v[8:9], v[8:9], v[34:35]
	v_fma_f64 v[6:7], v[12:13], s[8:9], v[6:7]
	v_add_f64 v[12:13], v[14:15], v[88:89]
	s_waitcnt lgkmcnt(0)
	v_fma_f64 v[14:15], v[18:19], s[6:7], v[0:1]
	s_barrier
	buffer_gl0_inv
	v_add_f64 v[30:31], v[50:51], v[72:73]
	v_fma_f64 v[0:1], v[18:19], s[8:9], v[0:1]
	ds_write2_b64 v209, v[2:3], v[20:21] offset1:10
	v_fma_f64 v[2:3], v[22:23], -0.5, v[52:53]
	v_add_f64 v[20:21], v[64:65], -v[62:63]
	v_add_f64 v[22:23], v[52:53], v[60:61]
	v_fma_f64 v[16:17], v[16:17], -0.5, v[50:51]
	v_add_f64 v[50:51], v[74:75], -v[68:69]
	ds_write_b64 v209, v[10:11] offset:160
	v_fma_f64 v[10:11], v[26:27], -0.5, v[48:49]
	v_add_f64 v[26:27], v[48:49], v[78:79]
	v_add_f64 v[48:49], v[82:83], -v[66:67]
	v_add_f64 v[18:19], v[173:174], v[183:184]
	v_add_f64 v[52:53], v[185:186], -v[100:101]
	v_add_f64 v[54:55], v[169:170], -v[181:182]
	ds_write2_b64 v210, v[8:9], v[28:29] offset1:10
	v_add_f64 v[8:9], v[171:172], v[191:192]
	ds_write_b64 v210, v[6:7] offset:160
	ds_write2_b64 v211, v[12:13], v[14:15] offset1:10
	v_add_f64 v[6:7], v[179:180], v[165:166]
	v_add_f64 v[12:13], v[167:168], v[189:190]
	v_mul_u32_u24_e32 v28, 0xf0, v111
	v_lshlrev_b32_sdwa v29, v148, v110 dst_sel:DWORD dst_unused:UNUSED_PAD src0_sel:DWORD src1_sel:WORD_0
	ds_write_b64 v211, v[0:1] offset:160
	v_add_f64 v[56:57], v[175:176], -v[187:188]
	v_mul_u32_u24_e32 v108, 0xf0, v155
	v_fma_f64 v[14:15], v[20:21], s[6:7], v[2:3]
	v_fma_f64 v[2:3], v[20:21], s[8:9], v[2:3]
	v_add_f64 v[20:21], v[22:23], v[70:71]
	v_add3_u32 v212, 0, v28, v29
	v_fma_f64 v[28:29], v[50:51], s[6:7], v[16:17]
	v_fma_f64 v[16:17], v[50:51], s[8:9], v[16:17]
	v_add_f64 v[50:51], v[177:178], -v[102:103]
	v_fma_f64 v[0:1], v[48:49], s[8:9], v[10:11]
	v_fma_f64 v[18:19], v[18:19], -0.5, v[40:41]
	v_add_f64 v[40:41], v[40:41], v[173:174]
	v_add_f64 v[22:23], v[30:31], v[84:85]
	;; [unrolled: 1-line block ×3, first 2 shown]
	v_fma_f64 v[8:9], v[8:9], -0.5, v[46:47]
	v_add_f64 v[46:47], v[46:47], v[171:172]
	v_fma_f64 v[30:31], v[48:49], s[6:7], v[10:11]
	v_fma_f64 v[6:7], v[6:7], -0.5, v[44:45]
	v_add_f64 v[44:45], v[44:45], v[179:180]
	v_fma_f64 v[12:13], v[12:13], -0.5, v[42:43]
	v_add_f64 v[42:43], v[42:43], v[167:168]
	v_lshlrev_b32_sdwa v109, v148, v157 dst_sel:DWORD dst_unused:UNUSED_PAD src0_sel:DWORD src1_sel:WORD_0
	v_mul_u32_u24_e32 v58, 0xf0, v154
	v_lshlrev_b32_sdwa v59, v148, v156 dst_sel:DWORD dst_unused:UNUSED_PAD src0_sel:DWORD src1_sel:WORD_0
	v_mul_u32_u24_e32 v48, 0xf0, v159
	v_lshlrev_b32_sdwa v49, v148, v160 dst_sel:DWORD dst_unused:UNUSED_PAD src0_sel:DWORD src1_sel:WORD_0
	v_add3_u32 v214, 0, v108, v109
	v_add_f64 v[151:152], v[64:65], v[62:63]
	v_add3_u32 v213, 0, v58, v59
	ds_write2_b64 v212, v[20:21], v[14:15] offset1:10
	ds_write_b64 v212, v[2:3] offset:160
	ds_write2_b64 v213, v[22:23], v[28:29] offset1:10
	ds_write_b64 v213, v[16:17] offset:160
	ds_write2_b64 v214, v[26:27], v[30:31] offset1:10
	v_add_f64 v[26:27], v[40:41], v[183:184]
	v_fma_f64 v[10:11], v[50:51], s[6:7], v[8:9]
	v_add_f64 v[2:3], v[46:47], v[191:192]
	v_fma_f64 v[8:9], v[50:51], s[8:9], v[8:9]
	v_fma_f64 v[16:17], v[52:53], s[6:7], v[6:7]
	v_add_f64 v[14:15], v[44:45], v[165:166]
	v_add_f64 v[40:41], v[98:99], v[96:97]
	ds_write_b64 v214, v[0:1] offset:160
	v_add_f64 v[0:1], v[38:39], v[90:91]
	v_fma_f64 v[6:7], v[52:53], s[8:9], v[6:7]
	v_add_f64 v[20:21], v[42:43], v[189:190]
	v_fma_f64 v[22:23], v[54:55], s[6:7], v[12:13]
	v_fma_f64 v[12:13], v[54:55], s[8:9], v[12:13]
	;; [unrolled: 1-line block ×3, first 2 shown]
	v_mul_u32_u24_e32 v42, 0xf0, v153
	v_lshlrev_b32_sdwa v43, v148, v158 dst_sel:DWORD dst_unused:UNUSED_PAD src0_sel:DWORD src1_sel:WORD_0
	v_mul_u32_u24_e32 v44, 0xf0, v161
	v_lshlrev_b32_sdwa v45, v148, v163 dst_sel:DWORD dst_unused:UNUSED_PAD src0_sel:DWORD src1_sel:WORD_0
	;; [unrolled: 2-line block ×3, first 2 shown]
	v_add3_u32 v159, 0, v48, v49
	v_add3_u32 v160, 0, v42, v43
	;; [unrolled: 1-line block ×3, first 2 shown]
	v_add_f64 v[30:31], v[24:25], v[98:99]
	v_add3_u32 v162, 0, v46, v47
	ds_write2_b64 v159, v[2:3], v[10:11] offset1:10
	ds_write_b64 v159, v[8:9] offset:160
	ds_write2_b64 v160, v[14:15], v[16:17] offset1:10
	ds_write_b64 v160, v[6:7] offset:160
	;; [unrolled: 2-line block ×3, first 2 shown]
	ds_write2_b64 v162, v[26:27], v[28:29] offset1:10
	v_fma_f64 v[2:3], v[40:41], -0.5, v[24:25]
	v_add_f64 v[6:7], v[94:95], -v[32:33]
	v_add_f64 v[8:9], v[4:5], v[38:39]
	v_fma_f64 v[0:1], v[0:1], -0.5, v[4:5]
	v_add_f64 v[4:5], v[36:37], -v[34:35]
	v_add_f64 v[94:95], v[92:93], v[80:81]
	v_add_f64 v[92:93], v[193:194], v[92:93]
	v_fma_f64 v[18:19], v[56:57], s[8:9], v[18:19]
	v_add_f64 v[153:154], v[74:75], v[68:69]
	v_add_f64 v[155:156], v[82:83], v[66:67]
	v_add_f64 v[76:77], v[76:77], -v[88:89]
	v_add_f64 v[64:65], v[195:196], v[64:65]
	v_add_f64 v[60:61], v[60:61], -v[70:71]
	v_add_f64 v[96:97], v[30:31], v[96:97]
	v_add_f64 v[88:89], v[177:178], v[102:103]
	;; [unrolled: 1-line block ×4, first 2 shown]
	v_add_f64 v[72:73], v[72:73], -v[84:85]
	v_add_f64 v[82:83], v[199:200], v[82:83]
	v_add_f64 v[78:79], v[78:79], -v[86:87]
	v_fma_f64 v[98:99], v[6:7], s[8:9], v[2:3]
	v_add_f64 v[90:91], v[8:9], v[90:91]
	v_fma_f64 v[108:109], v[6:7], s[6:7], v[2:3]
	v_fma_f64 v[110:111], v[4:5], s[8:9], v[0:1]
	v_fma_f64 v[149:150], v[4:5], s[6:7], v[0:1]
	v_fma_f64 v[94:95], v[94:95], -0.5, v[193:194]
	v_add_f64 v[80:81], v[92:93], v[80:81]
	v_fma_f64 v[92:93], v[151:152], -0.5, v[195:196]
	ds_write_b64 v162, v[18:19] offset:160
	s_waitcnt lgkmcnt(0)
	s_barrier
	buffer_gl0_inv
	ds_read_b64 v[56:57], v147
	ds_read_b64 v[54:55], v146
	;; [unrolled: 1-line block ×10, first 2 shown]
	ds_read2_b64 v[36:39], v118 offset0:42 offset1:123
	ds_read2_b64 v[32:35], v119 offset0:84 offset1:165
	ds_read2_b64 v[28:31], v134 offset0:76 offset1:157
	ds_read2_b64 v[24:27], v135 offset0:118 offset1:199
	ds_read2_b64 v[20:23], v136 offset0:110 offset1:191
	ds_read2_b64 v[16:19], v137 offset0:152 offset1:233
	ds_read2_b64 v[12:15], v139 offset0:16 offset1:97
	ds_read2_b64 v[4:7], v141 offset0:58 offset1:139
	ds_read2_b64 v[8:11], v144 offset0:50 offset1:131
	ds_read2_b64 v[0:3], v145 offset0:92 offset1:173
	s_waitcnt lgkmcnt(0)
	s_barrier
	buffer_gl0_inv
	ds_write2_b64 v209, v[96:97], v[98:99] offset1:10
	ds_write_b64 v209, v[108:109] offset:160
	v_add_f64 v[96:97], v[169:170], v[181:182]
	ds_write2_b64 v210, v[90:91], v[110:111] offset1:10
	ds_write_b64 v210, v[149:150] offset:160
	v_add_f64 v[90:91], v[175:176], v[187:188]
	v_fma_f64 v[74:75], v[153:154], -0.5, v[197:198]
	v_fma_f64 v[84:85], v[155:156], -0.5, v[199:200]
	v_fma_f64 v[86:87], v[76:77], s[8:9], v[94:95]
	v_fma_f64 v[76:77], v[76:77], s[6:7], v[94:95]
	v_add_f64 v[62:63], v[64:65], v[62:63]
	v_fma_f64 v[64:65], v[60:61], s[8:9], v[92:93]
	v_fma_f64 v[60:61], v[60:61], s[6:7], v[92:93]
	v_add_f64 v[98:99], v[201:202], v[177:178]
	v_fma_f64 v[88:89], v[88:89], -0.5, v[201:202]
	v_add_f64 v[108:109], v[171:172], -v[191:192]
	v_add_f64 v[110:111], v[203:204], v[185:186]
	v_fma_f64 v[149:150], v[157:158], -0.5, v[203:204]
	v_add_f64 v[151:152], v[179:180], -v[165:166]
	v_add_f64 v[155:156], v[167:168], -v[189:190]
	v_add_f64 v[94:95], v[207:208], v[175:176]
	v_add_f64 v[157:158], v[173:174], -v[183:184]
	v_add_f64 v[153:154], v[205:206], v[169:170]
	v_add_f64 v[68:69], v[70:71], v[68:69]
	;; [unrolled: 1-line block ×3, first 2 shown]
	v_fma_f64 v[96:97], v[96:97], -0.5, v[205:206]
	v_fma_f64 v[90:91], v[90:91], -0.5, v[207:208]
	v_fma_f64 v[70:71], v[72:73], s[8:9], v[74:75]
	v_fma_f64 v[72:73], v[72:73], s[6:7], v[74:75]
	;; [unrolled: 1-line block ×3, first 2 shown]
	ds_write2_b64 v211, v[80:81], v[86:87] offset1:10
	ds_write_b64 v211, v[76:77] offset:160
	ds_write2_b64 v212, v[62:63], v[64:65] offset1:10
	ds_write_b64 v212, v[60:61] offset:160
	v_mul_lo_u16 v61, 0x89, v107
	v_fma_f64 v[78:79], v[78:79], s[6:7], v[84:85]
	v_add_f64 v[80:81], v[98:99], v[102:103]
	v_fma_f64 v[82:83], v[108:109], s[8:9], v[88:89]
	v_fma_f64 v[84:85], v[108:109], s[6:7], v[88:89]
	v_add_f64 v[86:87], v[110:111], v[100:101]
	v_fma_f64 v[88:89], v[151:152], s[8:9], v[149:150]
	v_lshrrev_b16 v62, 12, v61
	v_fma_f64 v[92:93], v[151:152], s[6:7], v[149:150]
	v_add_f64 v[94:95], v[94:95], v[187:188]
	v_add_f64 v[98:99], v[153:154], v[181:182]
	v_mul_lo_u16 v60, 0x89, v106
	v_mul_lo_u16 v61, v62, 30
	v_fma_f64 v[100:101], v[155:156], s[8:9], v[96:97]
	v_fma_f64 v[76:77], v[155:156], s[6:7], v[96:97]
	;; [unrolled: 1-line block ×4, first 2 shown]
	v_sub_nc_u16 v63, v126, v61
	v_mov_b32_e32 v61, 0x8889
	ds_write2_b64 v213, v[68:69], v[70:71] offset1:10
	ds_write_b64 v213, v[72:73] offset:160
	ds_write2_b64 v214, v[66:67], v[74:75] offset1:10
	v_lshrrev_b16 v90, 12, v60
	v_mul_lo_u16 v68, 0x89, v105
	v_mul_u32_u24_sdwa v72, v125, v61 dst_sel:DWORD dst_unused:UNUSED_PAD src0_sel:WORD_0 src1_sel:DWORD
	ds_write_b64 v214, v[78:79] offset:160
	ds_write2_b64 v159, v[80:81], v[82:83] offset1:10
	ds_write_b64 v159, v[84:85] offset:160
	v_mul_lo_u16 v60, v90, 30
	v_mul_u32_u24_sdwa v79, v130, v61 dst_sel:DWORD dst_unused:UNUSED_PAD src0_sel:WORD_0 src1_sel:DWORD
	ds_write2_b64 v160, v[86:87], v[88:89] offset1:10
	v_lshrrev_b32_e32 v88, 20, v72
	ds_write_b64 v160, v[92:93] offset:160
	ds_write2_b64 v161, v[98:99], v[100:101] offset1:10
	v_sub_nc_u16 v91, v124, v60
	v_mul_lo_u16 v78, v88, 30
	ds_write_b64 v161, v[76:77] offset:160
	ds_write2_b64 v162, v[94:95], v[96:97] offset1:10
	ds_write_b64 v162, v[102:103] offset:160
	v_lshrrev_b16 v89, 12, v68
	v_lshlrev_b32_sdwa v60, v104, v91 dst_sel:DWORD dst_unused:UNUSED_PAD src0_sel:DWORD src1_sel:BYTE_0
	v_sub_nc_u16 v96, v125, v78
	s_waitcnt lgkmcnt(0)
	s_barrier
	buffer_gl0_inv
	s_clause 0x1
	global_load_dwordx4 v[64:67], v60, s[12:13] offset:320
	global_load_dwordx4 v[72:75], v60, s[12:13] offset:336
	v_lshlrev_b32_sdwa v76, v104, v63 dst_sel:DWORD dst_unused:UNUSED_PAD src0_sel:DWORD src1_sel:BYTE_0
	v_mul_lo_u16 v77, v89, 30
	v_mul_u32_u24_sdwa v60, v127, v61 dst_sel:DWORD dst_unused:UNUSED_PAD src0_sel:WORD_0 src1_sel:DWORD
	v_lshlrev_b32_sdwa v81, v104, v96 dst_sel:DWORD dst_unused:UNUSED_PAD src0_sel:DWORD src1_sel:WORD_0
	v_lshrrev_b32_e32 v92, 20, v79
	global_load_dwordx4 v[68:71], v76, s[12:13] offset:320
	v_sub_nc_u16 v99, v129, v77
	v_lshrrev_b32_e32 v94, 20, v60
	s_clause 0x2
	global_load_dwordx4 v[108:111], v81, s[12:13] offset:320
	global_load_dwordx4 v[76:79], v76, s[12:13] offset:336
	;; [unrolled: 1-line block ×3, first 2 shown]
	v_mul_lo_u16 v86, v92, 30
	v_mul_lo_u16 v80, v94, 30
	v_lshlrev_b32_sdwa v60, v104, v99 dst_sel:DWORD dst_unused:UNUSED_PAD src0_sel:DWORD src1_sel:BYTE_0
	v_mul_u32_u24_sdwa v81, v128, v61 dst_sel:DWORD dst_unused:UNUSED_PAD src0_sel:WORD_0 src1_sel:DWORD
	v_sub_nc_u16 v93, v130, v86
	v_sub_nc_u16 v95, v127, v80
	s_clause 0x1
	global_load_dwordx4 v[82:85], v60, s[12:13] offset:320
	global_load_dwordx4 v[149:152], v60, s[12:13] offset:336
	v_lshrrev_b32_e32 v98, 20, v81
	v_lshlrev_b32_sdwa v80, v104, v93 dst_sel:DWORD dst_unused:UNUSED_PAD src0_sel:DWORD src1_sel:WORD_0
	v_lshlrev_b32_sdwa v60, v104, v95 dst_sel:DWORD dst_unused:UNUSED_PAD src0_sel:DWORD src1_sel:WORD_0
	s_clause 0x3
	global_load_dwordx4 v[157:160], v60, s[12:13] offset:320
	global_load_dwordx4 v[161:164], v80, s[12:13] offset:320
	;; [unrolled: 1-line block ×4, first 2 shown]
	v_mul_u32_u24_sdwa v60, v132, v61 dst_sel:DWORD dst_unused:UNUSED_PAD src0_sel:WORD_0 src1_sel:DWORD
	v_mul_lo_u16 v81, v98, 30
	v_lshrrev_b32_e32 v97, 20, v60
	v_mul_u32_u24_sdwa v60, v133, v61 dst_sel:DWORD dst_unused:UNUSED_PAD src0_sel:WORD_0 src1_sel:DWORD
	v_sub_nc_u16 v100, v128, v81
	v_mul_u32_u24_sdwa v61, v131, v61 dst_sel:DWORD dst_unused:UNUSED_PAD src0_sel:WORD_0 src1_sel:DWORD
	v_mul_lo_u16 v80, v97, 30
	v_lshrrev_b32_e32 v101, 20, v60
	v_lshlrev_b32_sdwa v60, v104, v100 dst_sel:DWORD dst_unused:UNUSED_PAD src0_sel:DWORD src1_sel:WORD_0
	v_lshrrev_b32_e32 v102, 20, v61
	v_sub_nc_u16 v103, v132, v80
	v_mul_lo_u16 v61, v101, 30
	s_clause 0x1
	global_load_dwordx4 v[173:176], v60, s[12:13] offset:320
	global_load_dwordx4 v[181:184], v60, s[12:13] offset:336
	v_mul_lo_u16 v80, v102, 30
	v_lshlrev_b32_sdwa v81, v104, v103 dst_sel:DWORD dst_unused:UNUSED_PAD src0_sel:DWORD src1_sel:WORD_0
	v_sub_nc_u16 v106, v133, v61
	v_sub_nc_u16 v107, v131, v80
	global_load_dwordx4 v[177:180], v81, s[12:13] offset:320
	v_lshlrev_b32_sdwa v61, v104, v106 dst_sel:DWORD dst_unused:UNUSED_PAD src0_sel:DWORD src1_sel:WORD_0
	v_lshlrev_b32_sdwa v60, v104, v107 dst_sel:DWORD dst_unused:UNUSED_PAD src0_sel:DWORD src1_sel:WORD_0
	s_clause 0x4
	global_load_dwordx4 v[185:188], v81, s[12:13] offset:336
	global_load_dwordx4 v[189:192], v61, s[12:13] offset:320
	;; [unrolled: 1-line block ×5, first 2 shown]
	ds_read2_b64 v[205:208], v118 offset0:42 offset1:123
	ds_read2_b64 v[209:212], v119 offset0:84 offset1:165
	;; [unrolled: 1-line block ×6, first 2 shown]
	s_waitcnt vmcnt(19) lgkmcnt(5)
	v_mul_f64 v[60:61], v[205:206], v[66:67]
	v_mul_f64 v[66:67], v[36:37], v[66:67]
	s_waitcnt vmcnt(18) lgkmcnt(4)
	v_mul_f64 v[86:87], v[209:210], v[74:75]
	v_mul_f64 v[74:75], v[32:33], v[74:75]
	s_waitcnt vmcnt(17)
	v_mul_f64 v[80:81], v[207:208], v[70:71]
	v_mul_f64 v[70:71], v[38:39], v[70:71]
	s_waitcnt vmcnt(15)
	v_mul_f64 v[229:230], v[211:212], v[78:79]
	v_mul_f64 v[78:79], v[34:35], v[78:79]
	s_waitcnt vmcnt(14) lgkmcnt(3)
	v_mul_f64 v[237:238], v[219:220], v[155:156]
	v_mul_f64 v[155:156], v[26:27], v[155:156]
	s_waitcnt vmcnt(13) lgkmcnt(2)
	v_mul_f64 v[231:232], v[213:214], v[84:85]
	s_waitcnt vmcnt(12)
	v_mul_f64 v[235:236], v[217:218], v[151:152]
	v_fma_f64 v[36:37], v[36:37], v[64:65], -v[60:61]
	v_fma_f64 v[60:61], v[205:206], v[64:65], v[66:67]
	v_mul_f64 v[64:65], v[215:216], v[110:111]
	v_mul_f64 v[110:111], v[30:31], v[110:111]
	;; [unrolled: 1-line block ×4, first 2 shown]
	s_waitcnt vmcnt(11) lgkmcnt(1)
	v_mul_f64 v[239:240], v[221:222], v[159:160]
	v_fma_f64 v[80:81], v[38:39], v[68:69], -v[80:81]
	v_fma_f64 v[38:39], v[32:33], v[72:73], -v[86:87]
	v_mul_f64 v[159:160], v[20:21], v[159:160]
	v_fma_f64 v[84:85], v[207:208], v[68:69], v[70:71]
	v_fma_f64 v[86:87], v[34:35], v[76:77], -v[229:230]
	s_waitcnt vmcnt(9) lgkmcnt(0)
	v_mul_f64 v[34:35], v[225:226], v[167:168]
	v_fma_f64 v[32:33], v[209:210], v[72:73], v[74:75]
	v_mul_f64 v[209:210], v[223:224], v[163:164]
	ds_read2_b64 v[205:208], v139 offset0:16 offset1:97
	v_mul_f64 v[163:164], v[22:23], v[163:164]
	v_fma_f64 v[68:69], v[211:212], v[76:77], v[78:79]
	v_fma_f64 v[76:77], v[26:27], v[153:154], -v[237:238]
	v_mul_f64 v[167:168], v[16:17], v[167:168]
	s_waitcnt vmcnt(8)
	v_mul_f64 v[211:212], v[227:228], v[171:172]
	v_fma_f64 v[78:79], v[24:25], v[149:150], -v[235:236]
	ds_read2_b64 v[24:27], v144 offset0:50 offset1:131
	v_fma_f64 v[74:75], v[28:29], v[82:83], -v[231:232]
	v_fma_f64 v[66:67], v[30:31], v[108:109], -v[64:65]
	v_fma_f64 v[70:71], v[215:216], v[108:109], v[110:111]
	v_fma_f64 v[72:73], v[217:218], v[149:150], v[151:152]
	;; [unrolled: 1-line block ×3, first 2 shown]
	v_mul_f64 v[151:152], v[18:19], v[171:172]
	ds_read2_b64 v[28:31], v141 offset0:58 offset1:139
	v_add_f64 v[108:109], v[36:37], v[38:39]
	v_fma_f64 v[149:150], v[221:222], v[157:158], v[159:160]
	v_fma_f64 v[110:111], v[20:21], v[157:158], -v[239:240]
	v_fma_f64 v[82:83], v[213:214], v[82:83], v[233:234]
	v_fma_f64 v[159:160], v[16:17], v[165:166], -v[34:35]
	s_waitcnt vmcnt(7) lgkmcnt(2)
	v_mul_f64 v[153:154], v[205:206], v[175:176]
	v_mul_f64 v[16:17], v[12:13], v[175:176]
	s_waitcnt vmcnt(5)
	v_mul_f64 v[34:35], v[207:208], v[179:180]
	v_fma_f64 v[155:156], v[22:23], v[161:162], -v[209:210]
	ds_read2_b64 v[20:23], v145 offset0:92 offset1:173
	v_fma_f64 v[157:158], v[223:224], v[161:162], v[163:164]
	v_mul_f64 v[163:164], v[14:15], v[179:180]
	s_waitcnt vmcnt(3) lgkmcnt(2)
	v_mul_f64 v[179:180], v[24:25], v[191:192]
	v_fma_f64 v[161:162], v[225:226], v[165:166], v[167:168]
	v_fma_f64 v[165:166], v[18:19], v[169:170], -v[211:212]
	v_mul_f64 v[167:168], v[4:5], v[183:184]
	v_mul_f64 v[175:176], v[6:7], v[187:188]
	s_waitcnt lgkmcnt(1)
	v_mul_f64 v[18:19], v[28:29], v[183:184]
	v_mul_f64 v[171:172], v[30:31], v[187:188]
	v_mul_f64 v[183:184], v[8:9], v[191:192]
	s_waitcnt vmcnt(2)
	v_mul_f64 v[187:188], v[26:27], v[195:196]
	v_fma_f64 v[108:109], v[108:109], -0.5, v[58:59]
	v_add_f64 v[58:59], v[58:59], v[36:37]
	v_fma_f64 v[151:152], v[227:228], v[169:170], v[151:152]
	s_waitcnt vmcnt(1)
	v_mul_f64 v[169:170], v[0:1], v[199:200]
	v_fma_f64 v[153:154], v[12:13], v[173:174], -v[153:154]
	v_fma_f64 v[173:174], v[205:206], v[173:174], v[16:17]
	s_waitcnt lgkmcnt(0)
	v_mul_f64 v[12:13], v[20:21], v[199:200]
	s_waitcnt vmcnt(0)
	v_mul_f64 v[199:200], v[22:23], v[203:204]
	v_mul_f64 v[203:204], v[2:3], v[203:204]
	v_add_f64 v[16:17], v[80:81], v[86:87]
	v_fma_f64 v[205:206], v[14:15], v[177:178], -v[34:35]
	v_add_f64 v[14:15], v[74:75], v[78:79]
	v_fma_f64 v[163:164], v[207:208], v[177:178], v[163:164]
	v_mov_b32_e32 v207, 0x2d0
	v_mul_f64 v[191:192], v[10:11], v[195:196]
	v_add_f64 v[195:196], v[60:61], -v[32:33]
	v_fma_f64 v[179:180], v[8:9], v[189:190], -v[179:180]
	v_lshlrev_b32_sdwa v9, v148, v91 dst_sel:DWORD dst_unused:UNUSED_PAD src0_sel:DWORD src1_sel:BYTE_0
	v_mul_u32_u24_sdwa v8, v90, v207 dst_sel:DWORD dst_unused:UNUSED_PAD src0_sel:WORD_0 src1_sel:DWORD
	v_fma_f64 v[177:178], v[4:5], v[181:182], -v[18:19]
	v_fma_f64 v[167:168], v[28:29], v[181:182], v[167:168]
	v_fma_f64 v[181:182], v[24:25], v[189:190], v[183:184]
	v_fma_f64 v[183:184], v[10:11], v[193:194], -v[187:188]
	v_add_f64 v[4:5], v[58:59], v[38:39]
	v_fma_f64 v[171:172], v[6:7], v[185:186], -v[171:172]
	v_fma_f64 v[90:91], v[20:21], v[197:198], v[169:170]
	v_fma_f64 v[175:176], v[30:31], v[185:186], v[175:176]
	v_add_f64 v[30:31], v[52:53], v[66:67]
	v_fma_f64 v[58:59], v[0:1], v[197:198], -v[12:13]
	v_fma_f64 v[169:170], v[2:3], v[201:202], -v[199:200]
	v_fma_f64 v[187:188], v[22:23], v[201:202], v[203:204]
	v_add3_u32 v203, 0, v8, v9
	v_fma_f64 v[0:1], v[16:17], -0.5, v[56:57]
	v_add_f64 v[2:3], v[56:57], v[80:81]
	v_add_f64 v[8:9], v[84:85], -v[68:69]
	v_fma_f64 v[10:11], v[14:15], -0.5, v[54:55]
	v_add_f64 v[12:13], v[54:55], v[74:75]
	v_add_f64 v[14:15], v[82:83], -v[72:73]
	v_add_f64 v[16:17], v[66:67], v[76:77]
	v_fma_f64 v[6:7], v[195:196], s[6:7], v[108:109]
	v_add_f64 v[22:23], v[110:111], v[159:160]
	v_fma_f64 v[20:21], v[195:196], s[8:9], v[108:109]
	v_fma_f64 v[185:186], v[26:27], v[193:194], v[191:192]
	v_add_f64 v[26:27], v[155:156], v[165:166]
	ds_read_b64 v[18:19], v147
	ds_read_b64 v[56:57], v146
	;; [unrolled: 1-line block ×10, first 2 shown]
	s_waitcnt lgkmcnt(0)
	s_barrier
	buffer_gl0_inv
	ds_write2_b64 v203, v[4:5], v[6:7] offset1:30
	ds_write_b64 v203, v[20:21] offset:480
	v_add_f64 v[2:3], v[2:3], v[86:87]
	v_fma_f64 v[28:29], v[8:9], s[6:7], v[0:1]
	v_fma_f64 v[0:1], v[8:9], s[8:9], v[0:1]
	v_add_f64 v[8:9], v[12:13], v[78:79]
	v_fma_f64 v[12:13], v[14:15], s[6:7], v[10:11]
	v_fma_f64 v[16:17], v[16:17], -0.5, v[52:53]
	v_mul_u32_u24_sdwa v52, v62, v207 dst_sel:DWORD dst_unused:UNUSED_PAD src0_sel:WORD_0 src1_sel:DWORD
	v_lshlrev_b32_sdwa v53, v148, v63 dst_sel:DWORD dst_unused:UNUSED_PAD src0_sel:DWORD src1_sel:BYTE_0
	v_fma_f64 v[4:5], v[22:23], -0.5, v[50:51]
	v_add_f64 v[6:7], v[50:51], v[110:111]
	v_mul_u32_u24_sdwa v50, v89, v207 dst_sel:DWORD dst_unused:UNUSED_PAD src0_sel:WORD_0 src1_sel:DWORD
	v_lshlrev_b32_sdwa v51, v148, v99 dst_sel:DWORD dst_unused:UNUSED_PAD src0_sel:DWORD src1_sel:BYTE_0
	v_add3_u32 v204, 0, v52, v53
	v_add_f64 v[34:35], v[70:71], -v[64:65]
	v_fma_f64 v[10:11], v[14:15], s[8:9], v[10:11]
	v_fma_f64 v[14:15], v[26:27], -0.5, v[48:49]
	v_add3_u32 v207, 0, v50, v51
	v_add_f64 v[22:23], v[48:49], v[155:156]
	v_add_f64 v[48:49], v[153:154], v[177:178]
	ds_write2_b64 v204, v[2:3], v[28:29] offset1:30
	ds_write_b64 v204, v[0:1] offset:480
	v_add_f64 v[0:1], v[205:206], v[171:172]
	v_add_f64 v[20:21], v[149:150], -v[161:162]
	ds_write2_b64 v207, v[8:9], v[12:13] offset1:30
	v_add_f64 v[12:13], v[179:180], v[58:59]
	v_add_f64 v[28:29], v[183:184], v[169:170]
	v_add_f64 v[26:27], v[157:158], -v[151:152]
	v_mul_u32_u24_e32 v50, 0x2d0, v88
	v_lshlrev_b32_sdwa v51, v148, v96 dst_sel:DWORD dst_unused:UNUSED_PAD src0_sel:DWORD src1_sel:WORD_0
	v_add_f64 v[2:3], v[30:31], v[76:77]
	v_add_f64 v[6:7], v[6:7], v[159:160]
	v_add_f64 v[52:53], v[185:186], -v[187:188]
	v_fma_f64 v[8:9], v[34:35], s[6:7], v[16:17]
	v_fma_f64 v[16:17], v[34:35], s[8:9], v[16:17]
	ds_write_b64 v207, v[10:11] offset:480
	v_add_f64 v[34:35], v[46:47], v[153:154]
	v_add_f64 v[10:11], v[22:23], v[165:166]
	v_fma_f64 v[22:23], v[48:49], -0.5, v[46:47]
	v_add_f64 v[46:47], v[173:174], -v[167:168]
	v_add_f64 v[48:49], v[163:164], -v[175:176]
	v_add3_u32 v208, 0, v50, v51
	v_add_f64 v[50:51], v[181:182], -v[90:91]
	v_mul_u32_u24_e32 v54, 0x2d0, v94
	v_fma_f64 v[0:1], v[0:1], -0.5, v[44:45]
	v_add_f64 v[44:45], v[44:45], v[205:206]
	v_fma_f64 v[30:31], v[20:21], s[6:7], v[4:5]
	v_fma_f64 v[12:13], v[12:13], -0.5, v[42:43]
	v_add_f64 v[42:43], v[42:43], v[179:180]
	v_fma_f64 v[4:5], v[20:21], s[8:9], v[4:5]
	;; [unrolled: 3-line block ×3, first 2 shown]
	v_fma_f64 v[14:15], v[26:27], s[8:9], v[14:15]
	v_lshlrev_b32_sdwa v55, v148, v95 dst_sel:DWORD dst_unused:UNUSED_PAD src0_sel:DWORD src1_sel:WORD_0
	v_mul_u32_u24_e32 v62, 0x2d0, v92
	v_lshlrev_b32_sdwa v63, v148, v93 dst_sel:DWORD dst_unused:UNUSED_PAD src0_sel:DWORD src1_sel:WORD_0
	v_add_f64 v[92:93], v[36:37], -v[38:39]
	v_add_f64 v[80:81], v[80:81], -v[86:87]
	v_add3_u32 v209, 0, v54, v55
	v_mul_u32_u24_e32 v54, 0x2d0, v98
	v_add3_u32 v210, 0, v62, v63
	ds_write2_b64 v208, v[2:3], v[8:9] offset1:30
	ds_write_b64 v208, v[16:17] offset:480
	ds_write2_b64 v209, v[6:7], v[30:31] offset1:30
	ds_write_b64 v209, v[4:5] offset:480
	ds_write2_b64 v210, v[10:11], v[20:21] offset1:30
	v_add_f64 v[2:3], v[34:35], v[177:178]
	v_fma_f64 v[4:5], v[46:47], s[6:7], v[22:23]
	v_fma_f64 v[6:7], v[46:47], s[8:9], v[22:23]
	v_add_f64 v[8:9], v[44:45], v[171:172]
	v_fma_f64 v[10:11], v[48:49], s[6:7], v[0:1]
	v_fma_f64 v[0:1], v[48:49], s[8:9], v[0:1]
	v_add_f64 v[16:17], v[60:61], v[32:33]
	v_add_f64 v[20:21], v[42:43], v[58:59]
	v_fma_f64 v[22:23], v[50:51], s[6:7], v[12:13]
	v_fma_f64 v[12:13], v[50:51], s[8:9], v[12:13]
	v_add_f64 v[26:27], v[40:41], v[169:170]
	v_fma_f64 v[30:31], v[52:53], s[6:7], v[28:29]
	v_lshlrev_b32_sdwa v55, v148, v100 dst_sel:DWORD dst_unused:UNUSED_PAD src0_sel:DWORD src1_sel:WORD_0
	ds_write_b64 v210, v[14:15] offset:480
	v_mul_u32_u24_e32 v14, 0x2d0, v97
	v_lshlrev_b32_sdwa v15, v148, v103 dst_sel:DWORD dst_unused:UNUSED_PAD src0_sel:DWORD src1_sel:WORD_0
	v_mul_u32_u24_e32 v40, 0x2d0, v101
	v_lshlrev_b32_sdwa v41, v148, v106 dst_sel:DWORD dst_unused:UNUSED_PAD src0_sel:DWORD src1_sel:WORD_0
	v_mul_u32_u24_e32 v42, 0x2d0, v102
	v_lshlrev_b32_sdwa v43, v148, v107 dst_sel:DWORD dst_unused:UNUSED_PAD src0_sel:DWORD src1_sel:WORD_0
	v_add3_u32 v211, 0, v54, v55
	v_add3_u32 v212, 0, v14, v15
	;; [unrolled: 1-line block ×3, first 2 shown]
	v_add_f64 v[34:35], v[24:25], v[60:61]
	v_add3_u32 v214, 0, v42, v43
	ds_write2_b64 v211, v[2:3], v[4:5] offset1:30
	ds_write_b64 v211, v[6:7] offset:480
	ds_write2_b64 v212, v[8:9], v[10:11] offset1:30
	ds_write_b64 v212, v[0:1] offset:480
	ds_write2_b64 v213, v[20:21], v[22:23] offset1:30
	ds_write_b64 v213, v[12:13] offset:480
	ds_write2_b64 v214, v[26:27], v[30:31] offset1:30
	v_add_f64 v[0:1], v[84:85], v[68:69]
	v_fma_f64 v[88:89], v[16:17], -0.5, v[24:25]
	v_add_f64 v[98:99], v[82:83], v[72:73]
	v_add_f64 v[84:85], v[18:19], v[84:85]
	;; [unrolled: 1-line block ×3, first 2 shown]
	v_fma_f64 v[28:29], v[52:53], s[8:9], v[28:29]
	v_add_f64 v[82:83], v[56:57], v[82:83]
	v_add_f64 v[102:103], v[149:150], v[161:162]
	;; [unrolled: 1-line block ×4, first 2 shown]
	v_add_f64 v[74:75], v[74:75], -v[78:79]
	v_add_f64 v[70:71], v[108:109], v[70:71]
	v_add_f64 v[66:67], v[66:67], -v[76:77]
	v_add_f64 v[58:59], v[179:180], -v[58:59]
	v_add_f64 v[94:95], v[34:35], v[32:33]
	v_fma_f64 v[100:101], v[0:1], -0.5, v[18:19]
	v_fma_f64 v[96:97], v[92:93], s[8:9], v[88:89]
	v_fma_f64 v[88:89], v[92:93], s[6:7], v[88:89]
	v_add_f64 v[92:93], v[163:164], v[175:176]
	v_fma_f64 v[56:57], v[98:99], -0.5, v[56:57]
	v_add_f64 v[68:69], v[84:85], v[68:69]
	v_add_f64 v[84:85], v[181:182], v[90:91]
	v_fma_f64 v[86:87], v[86:87], -0.5, v[108:109]
	ds_write_b64 v214, v[28:29] offset:480
	s_waitcnt lgkmcnt(0)
	s_barrier
	buffer_gl0_inv
	ds_read_b64 v[60:61], v147
	ds_read_b64 v[54:55], v146
	;; [unrolled: 1-line block ×10, first 2 shown]
	ds_read2_b64 v[36:39], v118 offset0:42 offset1:123
	ds_read2_b64 v[32:35], v119 offset0:84 offset1:165
	;; [unrolled: 1-line block ×10, first 2 shown]
	s_waitcnt lgkmcnt(0)
	s_barrier
	buffer_gl0_inv
	v_add_f64 v[72:73], v[82:83], v[72:73]
	v_fma_f64 v[78:79], v[80:81], s[8:9], v[100:101]
	v_fma_f64 v[76:77], v[80:81], s[6:7], v[100:101]
	v_add_f64 v[80:81], v[185:186], v[187:188]
	ds_write2_b64 v203, v[94:95], v[96:97] offset1:30
	v_add_f64 v[82:83], v[189:190], v[149:150]
	v_fma_f64 v[94:95], v[102:103], -0.5, v[189:190]
	v_add_f64 v[96:97], v[110:111], -v[159:160]
	v_add_f64 v[98:99], v[191:192], v[157:158]
	v_fma_f64 v[100:101], v[106:107], -0.5, v[191:192]
	v_add_f64 v[102:103], v[155:156], -v[165:166]
	;; [unrolled: 3-line block ×3, first 2 shown]
	v_fma_f64 v[92:93], v[92:93], -0.5, v[195:196]
	v_add_f64 v[153:154], v[205:206], -v[171:172]
	v_fma_f64 v[155:156], v[74:75], s[8:9], v[56:57]
	v_fma_f64 v[56:57], v[74:75], s[6:7], v[56:57]
	v_add_f64 v[74:75], v[197:198], v[181:182]
	v_fma_f64 v[84:85], v[84:85], -0.5, v[197:198]
	v_add_f64 v[149:150], v[195:196], v[163:164]
	v_add_f64 v[64:65], v[70:71], v[64:65]
	v_fma_f64 v[70:71], v[66:67], s[8:9], v[86:87]
	v_add_f64 v[157:158], v[199:200], v[185:186]
	v_add_f64 v[159:160], v[183:184], -v[169:170]
	v_fma_f64 v[80:81], v[80:81], -0.5, v[199:200]
	v_fma_f64 v[66:67], v[66:67], s[6:7], v[86:87]
	v_add_f64 v[82:83], v[82:83], v[161:162]
	ds_write_b64 v203, v[88:89] offset:480
	v_fma_f64 v[86:87], v[96:97], s[8:9], v[94:95]
	v_fma_f64 v[94:95], v[96:97], s[6:7], v[94:95]
	v_add_f64 v[96:97], v[98:99], v[151:152]
	v_fma_f64 v[98:99], v[102:103], s[8:9], v[100:101]
	v_fma_f64 v[100:101], v[102:103], s[6:7], v[100:101]
	v_add_f64 v[102:103], v[106:107], v[167:168]
	v_fma_f64 v[106:107], v[110:111], s[8:9], v[108:109]
	v_fma_f64 v[108:109], v[110:111], s[6:7], v[108:109]
	;; [unrolled: 1-line block ×3, first 2 shown]
	ds_write2_b64 v204, v[68:69], v[78:79] offset1:30
	ds_write_b64 v204, v[76:77] offset:480
	ds_write2_b64 v207, v[72:73], v[155:156] offset1:30
	ds_write_b64 v207, v[56:57] offset:480
	v_add_f64 v[68:69], v[74:75], v[90:91]
	v_fma_f64 v[74:75], v[58:59], s[8:9], v[84:85]
	v_add_f64 v[110:111], v[149:150], v[175:176]
	v_fma_f64 v[149:150], v[153:154], s[8:9], v[92:93]
	v_fma_f64 v[58:59], v[58:59], s[6:7], v[84:85]
	v_add_nc_u32_e32 v56, -9, v124
	ds_write2_b64 v208, v[64:65], v[70:71] offset1:30
	ds_write_b64 v208, v[66:67] offset:480
	ds_write2_b64 v209, v[82:83], v[86:87] offset1:30
	ds_write_b64 v209, v[94:95] offset:480
	ds_write2_b64 v210, v[96:97], v[98:99] offset1:30
	ds_write_b64 v210, v[100:101] offset:480
	v_cndmask_b32_e64 v94, v56, v126, s0
	v_mov_b32_e32 v57, 0
	v_add_f64 v[72:73], v[157:158], v[187:188]
	v_fma_f64 v[76:77], v[159:160], s[8:9], v[80:81]
	v_fma_f64 v[78:79], v[159:160], s[6:7], v[80:81]
	v_lshlrev_b32_e32 v56, 1, v124
	v_lshlrev_b32_e32 v64, 1, v94
	v_mov_b32_e32 v65, v57
	ds_write2_b64 v211, v[102:103], v[106:107] offset1:30
	ds_write_b64 v211, v[108:109] offset:480
	ds_write2_b64 v212, v[110:111], v[149:150] offset1:30
	ds_write_b64 v212, v[88:89] offset:480
	;; [unrolled: 2-line block ×3, first 2 shown]
	v_lshlrev_b64 v[58:59], 4, v[56:57]
	v_lshlrev_b64 v[64:65], 4, v[64:65]
	v_mov_b32_e32 v86, 0x2d83
	v_mul_lo_u16 v70, 0xb7, v105
	ds_write2_b64 v214, v[72:73], v[76:77] offset1:30
	ds_write_b64 v214, v[78:79] offset:480
	v_add_co_u32 v58, s0, s12, v58
	v_add_co_ci_u32_e64 v59, s0, s13, v59, s0
	v_add_co_u32 v64, s0, s12, v64
	v_mul_u32_u24_sdwa v71, v125, v86 dst_sel:DWORD dst_unused:UNUSED_PAD src0_sel:WORD_0 src1_sel:DWORD
	v_add_co_ci_u32_e64 v65, s0, s13, v65, s0
	s_waitcnt lgkmcnt(0)
	s_barrier
	buffer_gl0_inv
	s_clause 0x1
	global_load_dwordx4 v[66:69], v[58:59], off offset:1280
	global_load_dwordx4 v[74:77], v[58:59], off offset:1296
	v_lshrrev_b16 v96, 14, v70
	v_lshrrev_b32_e32 v95, 20, v71
	global_load_dwordx4 v[70:73], v[64:65], off offset:1280
	v_mul_u32_u24_sdwa v80, v127, v86 dst_sel:DWORD dst_unused:UNUSED_PAD src0_sel:WORD_0 src1_sel:DWORD
	v_mul_u32_u24_sdwa v82, v130, v86 dst_sel:DWORD dst_unused:UNUSED_PAD src0_sel:WORD_0 src1_sel:DWORD
	v_mul_lo_u16 v78, 0x5a, v96
	v_mul_lo_u16 v79, 0x5a, v95
	v_cmp_lt_u32_e64 s0, 8, v124
	v_lshrrev_b32_e32 v99, 20, v80
	v_lshrrev_b32_e32 v97, 20, v82
	v_sub_nc_u16 v103, v129, v78
	v_sub_nc_u16 v101, v125, v79
	global_load_dwordx4 v[78:81], v[64:65], off offset:1296
	v_mul_lo_u16 v87, 0x5a, v99
	v_mul_lo_u16 v88, 0x5a, v97
	v_lshlrev_b32_sdwa v64, v104, v103 dst_sel:DWORD dst_unused:UNUSED_PAD src0_sel:DWORD src1_sel:BYTE_0
	v_lshlrev_b32_sdwa v65, v104, v101 dst_sel:DWORD dst_unused:UNUSED_PAD src0_sel:DWORD src1_sel:WORD_0
	s_clause 0x1
	global_load_dwordx4 v[82:85], v64, s[12:13] offset:1280
	global_load_dwordx4 v[149:152], v65, s[12:13] offset:1280
	v_sub_nc_u16 v100, v127, v87
	global_load_dwordx4 v[153:156], v64, s[12:13] offset:1296
	v_sub_nc_u16 v98, v130, v88
	global_load_dwordx4 v[157:160], v65, s[12:13] offset:1296
	v_mul_u32_u24_sdwa v87, v128, v86 dst_sel:DWORD dst_unused:UNUSED_PAD src0_sel:WORD_0 src1_sel:DWORD
	v_lshlrev_b32_sdwa v64, v104, v100 dst_sel:DWORD dst_unused:UNUSED_PAD src0_sel:DWORD src1_sel:WORD_0
	v_lshlrev_b32_e32 v94, 3, v94
	v_cndmask_b32_e64 v111, 0, 0x870, s0
	v_lshlrev_b32_sdwa v101, v148, v101 dst_sel:DWORD dst_unused:UNUSED_PAD src0_sel:DWORD src1_sel:WORD_0
	v_lshrrev_b32_e32 v105, 20, v87
	global_load_dwordx4 v[161:164], v64, s[12:13] offset:1280
	v_lshlrev_b32_sdwa v65, v104, v98 dst_sel:DWORD dst_unused:UNUSED_PAD src0_sel:DWORD src1_sel:WORD_0
	s_clause 0x1
	global_load_dwordx4 v[165:168], v65, s[12:13] offset:1280
	global_load_dwordx4 v[169:172], v64, s[12:13] offset:1296
	v_mul_u32_u24_sdwa v64, v132, v86 dst_sel:DWORD dst_unused:UNUSED_PAD src0_sel:WORD_0 src1_sel:DWORD
	global_load_dwordx4 v[173:176], v65, s[12:13] offset:1296
	v_mul_u32_u24_sdwa v65, v133, v86 dst_sel:DWORD dst_unused:UNUSED_PAD src0_sel:WORD_0 src1_sel:DWORD
	v_mul_lo_u16 v87, 0x5a, v105
	v_add3_u32 v111, 0, v111, v94
	v_lshrrev_b32_e32 v102, 20, v64
	v_mul_u32_u24_sdwa v64, v131, v86 dst_sel:DWORD dst_unused:UNUSED_PAD src0_sel:WORD_0 src1_sel:DWORD
	v_lshrrev_b32_e32 v107, 20, v65
	v_sub_nc_u16 v110, v128, v87
	v_mov_b32_e32 v94, 0x870
	v_mul_lo_u16 v86, 0x5a, v102
	v_lshrrev_b32_e32 v64, 20, v64
	v_lshlrev_b32_sdwa v98, v148, v98 dst_sel:DWORD dst_unused:UNUSED_PAD src0_sel:DWORD src1_sel:WORD_0
	v_lshlrev_b32_sdwa v65, v104, v110 dst_sel:DWORD dst_unused:UNUSED_PAD src0_sel:DWORD src1_sel:WORD_0
	v_mul_u32_u24_sdwa v94, v96, v94 dst_sel:DWORD dst_unused:UNUSED_PAD src0_sel:WORD_0 src1_sel:DWORD
	v_sub_nc_u16 v108, v132, v86
	v_mul_lo_u16 v64, 0x5a, v64
	v_mul_lo_u16 v86, 0x5a, v107
	s_clause 0x1
	global_load_dwordx4 v[177:180], v65, s[12:13] offset:1280
	global_load_dwordx4 v[185:188], v65, s[12:13] offset:1296
	v_lshlrev_b32_sdwa v87, v104, v108 dst_sel:DWORD dst_unused:UNUSED_PAD src0_sel:DWORD src1_sel:WORD_0
	v_sub_nc_u16 v64, v131, v64
	v_sub_nc_u16 v109, v133, v86
	v_lshlrev_b32_sdwa v96, v148, v103 dst_sel:DWORD dst_unused:UNUSED_PAD src0_sel:DWORD src1_sel:BYTE_0
	v_mul_u32_u24_e32 v103, 0x870, v105
	s_clause 0x1
	global_load_dwordx4 v[181:184], v87, s[12:13] offset:1280
	global_load_dwordx4 v[189:192], v87, s[12:13] offset:1296
	v_and_b32_e32 v106, 0xffff, v64
	v_lshlrev_b32_sdwa v64, v104, v109 dst_sel:DWORD dst_unused:UNUSED_PAD src0_sel:DWORD src1_sel:WORD_0
	v_lshlrev_b32_sdwa v105, v148, v110 dst_sel:DWORD dst_unused:UNUSED_PAD src0_sel:DWORD src1_sel:WORD_0
	v_lshlrev_b32_e32 v65, 5, v106
	s_clause 0x3
	global_load_dwordx4 v[193:196], v64, s[12:13] offset:1280
	global_load_dwordx4 v[197:200], v65, s[12:13] offset:1280
	;; [unrolled: 1-line block ×4, first 2 shown]
	ds_read2_b64 v[86:89], v118 offset0:42 offset1:123
	ds_read2_b64 v[209:212], v119 offset0:84 offset1:165
	ds_read2_b64 v[213:216], v134 offset0:76 offset1:157
	ds_read2_b64 v[217:220], v135 offset0:118 offset1:199
	ds_read2_b64 v[221:224], v136 offset0:110 offset1:191
	ds_read2_b64 v[225:228], v137 offset0:152 offset1:233
	s_waitcnt vmcnt(19) lgkmcnt(5)
	v_mul_f64 v[64:65], v[86:87], v[68:69]
	v_mul_f64 v[68:69], v[36:37], v[68:69]
	s_waitcnt vmcnt(18) lgkmcnt(4)
	v_mul_f64 v[229:230], v[209:210], v[76:77]
	v_mul_f64 v[76:77], v[32:33], v[76:77]
	s_waitcnt vmcnt(17)
	v_mul_f64 v[90:91], v[88:89], v[72:73]
	v_mul_f64 v[72:73], v[38:39], v[72:73]
	s_waitcnt vmcnt(16)
	v_mul_f64 v[233:234], v[211:212], v[80:81]
	v_mul_f64 v[80:81], v[34:35], v[80:81]
	s_waitcnt vmcnt(15) lgkmcnt(3)
	v_mul_f64 v[235:236], v[213:214], v[84:85]
	v_fma_f64 v[64:65], v[36:37], v[66:67], -v[64:65]
	v_mul_f64 v[237:238], v[28:29], v[84:85]
	s_waitcnt vmcnt(14)
	v_mul_f64 v[239:240], v[215:216], v[151:152]
	v_mul_f64 v[151:152], v[30:31], v[151:152]
	v_fma_f64 v[92:93], v[86:87], v[66:67], v[68:69]
	s_waitcnt vmcnt(13) lgkmcnt(2)
	v_mul_f64 v[68:69], v[217:218], v[155:156]
	v_fma_f64 v[36:37], v[38:39], v[70:71], -v[90:91]
	v_fma_f64 v[38:39], v[88:89], v[70:71], v[72:73]
	v_mul_f64 v[70:71], v[24:25], v[155:156]
	s_waitcnt vmcnt(12)
	v_mul_f64 v[72:73], v[219:220], v[159:160]
	v_fma_f64 v[66:67], v[32:33], v[74:75], -v[229:230]
	s_waitcnt vmcnt(11) lgkmcnt(1)
	v_mul_f64 v[241:242], v[221:222], v[163:164]
	v_fma_f64 v[88:89], v[209:210], v[74:75], v[76:77]
	v_mul_f64 v[74:75], v[20:21], v[163:164]
	v_fma_f64 v[86:87], v[34:35], v[78:79], -v[233:234]
	v_fma_f64 v[34:35], v[211:212], v[78:79], v[80:81]
	s_waitcnt vmcnt(10)
	v_mul_f64 v[163:164], v[223:224], v[167:168]
	v_mul_f64 v[167:168], v[22:23], v[167:168]
	ds_read2_b64 v[229:232], v139 offset0:16 offset1:97
	s_waitcnt vmcnt(8) lgkmcnt(1)
	v_mul_f64 v[211:212], v[227:228], v[175:176]
	v_mul_f64 v[175:176], v[18:19], v[175:176]
	v_fma_f64 v[84:85], v[28:29], v[82:83], -v[235:236]
	v_mul_f64 v[159:160], v[26:27], v[159:160]
	v_fma_f64 v[90:91], v[213:214], v[82:83], v[237:238]
	v_fma_f64 v[28:29], v[30:31], v[149:150], -v[239:240]
	v_fma_f64 v[82:83], v[215:216], v[149:150], v[151:152]
	ds_read2_b64 v[149:152], v141 offset0:58 offset1:139
	v_fma_f64 v[24:25], v[24:25], v[153:154], -v[68:69]
	v_mul_f64 v[209:210], v[225:226], v[171:172]
	v_mul_f64 v[171:172], v[16:17], v[171:172]
	v_fma_f64 v[76:77], v[217:218], v[153:154], v[70:71]
	ds_read2_b64 v[153:156], v144 offset0:50 offset1:131
	v_fma_f64 v[32:33], v[26:27], v[157:158], -v[72:73]
	v_fma_f64 v[30:31], v[20:21], v[161:162], -v[241:242]
	v_add_f64 v[26:27], v[64:65], v[66:67]
	v_fma_f64 v[80:81], v[221:222], v[161:162], v[74:75]
	v_fma_f64 v[74:75], v[22:23], v[165:166], -v[163:164]
	v_fma_f64 v[78:79], v[223:224], v[165:166], v[167:168]
	s_waitcnt vmcnt(6)
	v_mul_f64 v[167:168], v[8:9], v[187:188]
	v_fma_f64 v[18:19], v[18:19], v[173:174], -v[211:212]
	v_fma_f64 v[70:71], v[227:228], v[173:174], v[175:176]
	s_waitcnt vmcnt(5) lgkmcnt(2)
	v_mul_f64 v[161:162], v[231:232], v[183:184]
	v_add_f64 v[175:176], v[36:37], v[86:87]
	v_fma_f64 v[72:73], v[219:220], v[157:158], v[159:160]
	s_waitcnt lgkmcnt(1)
	v_mul_f64 v[165:166], v[149:150], v[187:188]
	v_mul_f64 v[157:158], v[229:230], v[179:180]
	ds_read2_b64 v[20:23], v145 offset0:92 offset1:173
	v_mul_f64 v[159:160], v[12:13], v[179:180]
	v_fma_f64 v[16:17], v[16:17], v[169:170], -v[209:210]
	s_waitcnt vmcnt(3) lgkmcnt(1)
	v_mul_f64 v[173:174], v[153:154], v[195:196]
	v_fma_f64 v[68:69], v[225:226], v[169:170], v[171:172]
	v_mul_f64 v[171:172], v[10:11], v[191:192]
	v_mul_f64 v[163:164], v[14:15], v[183:184]
	;; [unrolled: 1-line block ×4, first 2 shown]
	s_waitcnt vmcnt(2)
	v_mul_f64 v[183:184], v[155:156], v[199:200]
	v_fma_f64 v[26:27], v[26:27], -0.5, v[62:63]
	v_add_f64 v[62:63], v[62:63], v[64:65]
	v_add_f64 v[191:192], v[92:93], -v[88:89]
	v_mul_f64 v[187:188], v[6:7], v[199:200]
	v_fma_f64 v[149:150], v[149:150], v[185:186], v[167:168]
	s_waitcnt vmcnt(1)
	v_mul_f64 v[195:196], v[0:1], v[203:204]
	v_fma_f64 v[161:162], v[14:15], v[181:182], -v[161:162]
	v_add_f64 v[14:15], v[60:61], v[36:37]
	v_fma_f64 v[8:9], v[8:9], v[185:186], -v[165:166]
	v_add_f64 v[165:166], v[84:85], v[24:25]
	s_waitcnt vmcnt(0) lgkmcnt(0)
	v_mul_f64 v[199:200], v[22:23], v[207:208]
	v_fma_f64 v[12:13], v[12:13], v[177:178], -v[157:158]
	v_mul_f64 v[157:158], v[20:21], v[203:204]
	v_fma_f64 v[167:168], v[4:5], v[193:194], -v[173:174]
	v_fma_f64 v[4:5], v[175:176], -0.5, v[60:61]
	v_add_f64 v[60:61], v[38:39], -v[34:35]
	v_fma_f64 v[151:152], v[151:152], v[189:190], v[171:172]
	v_add_f64 v[171:172], v[28:29], v[32:33]
	v_mul_f64 v[203:204], v[2:3], v[207:208]
	v_fma_f64 v[10:11], v[10:11], v[189:190], -v[169:170]
	v_fma_f64 v[169:170], v[6:7], v[197:198], -v[183:184]
	v_add_f64 v[6:7], v[62:63], v[66:67]
	v_fma_f64 v[62:63], v[191:192], s[6:7], v[26:27]
	v_fma_f64 v[26:27], v[191:192], s[8:9], v[26:27]
	v_add_f64 v[183:184], v[90:91], -v[76:77]
	v_fma_f64 v[155:156], v[155:156], v[197:198], v[187:188]
	v_add_f64 v[197:198], v[82:83], -v[72:73]
	v_fma_f64 v[159:160], v[229:230], v[177:178], v[159:160]
	v_add_f64 v[14:15], v[14:15], v[86:87]
	v_fma_f64 v[163:164], v[231:232], v[181:182], v[163:164]
	v_fma_f64 v[153:154], v[153:154], v[193:194], v[179:180]
	v_fma_f64 v[165:166], v[165:166], -0.5, v[54:55]
	v_add_f64 v[54:55], v[54:55], v[84:85]
	v_fma_f64 v[173:174], v[2:3], v[205:206], -v[199:200]
	v_add_f64 v[199:200], v[74:75], v[18:19]
	v_fma_f64 v[0:1], v[0:1], v[201:202], -v[157:158]
	v_fma_f64 v[157:158], v[20:21], v[201:202], v[195:196]
	v_fma_f64 v[185:186], v[60:61], s[6:7], v[4:5]
	v_add_f64 v[195:196], v[30:31], v[16:17]
	v_fma_f64 v[171:172], v[171:172], -0.5, v[52:53]
	v_add_f64 v[52:53], v[52:53], v[28:29]
	v_fma_f64 v[4:5], v[60:61], s[8:9], v[4:5]
	v_fma_f64 v[175:176], v[22:23], v[205:206], v[203:204]
	ds_read_b64 v[2:3], v147
	ds_read_b64 v[20:21], v146
	;; [unrolled: 1-line block ×10, first 2 shown]
	s_waitcnt lgkmcnt(0)
	s_barrier
	buffer_gl0_inv
	ds_write2_b64 v114, v[6:7], v[62:63] offset1:90
	ds_write_b64 v114, v[26:27] offset:1440
	v_add_f64 v[60:61], v[12:13], v[8:9]
	v_add_f64 v[62:63], v[80:81], -v[68:69]
	v_add_f64 v[84:85], v[84:85], -v[24:25]
	v_fma_f64 v[26:27], v[183:184], s[6:7], v[165:166]
	v_add_f64 v[6:7], v[54:55], v[24:25]
	v_add_f64 v[54:55], v[50:51], v[30:31]
	ds_write2_b64 v111, v[14:15], v[185:186] offset1:90
	v_fma_f64 v[14:15], v[183:184], s[8:9], v[165:166]
	v_fma_f64 v[183:184], v[199:200], -0.5, v[48:49]
	v_add3_u32 v199, 0, v94, v96
	v_fma_f64 v[50:51], v[195:196], -0.5, v[50:51]
	v_add_f64 v[52:53], v[52:53], v[32:33]
	v_fma_f64 v[165:166], v[197:198], s[6:7], v[171:172]
	v_add_f64 v[48:49], v[48:49], v[74:75]
	v_add_f64 v[185:186], v[78:79], -v[70:71]
	v_add_f64 v[195:196], v[161:162], v[10:11]
	ds_write_b64 v111, v[4:5] offset:1440
	v_add_f64 v[4:5], v[169:170], v[173:174]
	v_mul_u32_u24_e32 v96, 0x870, v95
	v_add_f64 v[94:95], v[167:168], v[0:1]
	v_add_f64 v[74:75], v[74:75], -v[18:19]
	ds_write2_b64 v199, v[6:7], v[26:27] offset1:90
	v_fma_f64 v[26:27], v[60:61], -0.5, v[46:47]
	v_add_f64 v[46:47], v[46:47], v[12:13]
	v_fma_f64 v[6:7], v[197:198], s[8:9], v[171:172]
	v_add3_u32 v197, 0, v96, v101
	v_mul_u32_u24_e32 v96, 0x870, v99
	ds_write_b64 v199, v[14:15] offset:1440
	v_add_f64 v[14:15], v[54:55], v[16:17]
	v_add_f64 v[54:55], v[159:160], -v[149:150]
	v_lshlrev_b32_sdwa v101, v148, v100 dst_sel:DWORD dst_unused:UNUSED_PAD src0_sel:DWORD src1_sel:WORD_0
	v_fma_f64 v[60:61], v[62:63], s[6:7], v[50:51]
	ds_write2_b64 v197, v[52:53], v[165:166] offset1:90
	v_fma_f64 v[50:51], v[62:63], s[8:9], v[50:51]
	v_add_f64 v[48:49], v[48:49], v[18:19]
	v_fma_f64 v[52:53], v[185:186], s[6:7], v[183:184]
	v_fma_f64 v[62:63], v[195:196], -0.5, v[44:45]
	v_add_f64 v[44:45], v[44:45], v[161:162]
	v_add_f64 v[99:100], v[163:164], -v[151:152]
	v_fma_f64 v[4:5], v[4:5], -0.5, v[40:41]
	v_add_f64 v[171:172], v[155:156], -v[175:176]
	v_add3_u32 v195, 0, v96, v101
	v_mul_u32_u24_e32 v101, 0x870, v97
	v_fma_f64 v[96:97], v[185:186], s[8:9], v[183:184]
	v_fma_f64 v[94:95], v[94:95], -0.5, v[42:43]
	v_add_f64 v[42:43], v[42:43], v[167:168]
	v_add_f64 v[165:166], v[153:154], -v[157:158]
	v_add_f64 v[46:47], v[46:47], v[8:9]
	v_add_f64 v[40:41], v[40:41], v[169:170]
	v_add3_u32 v185, 0, v101, v98
	v_add3_u32 v186, 0, v103, v105
	v_fma_f64 v[183:184], v[54:55], s[6:7], v[26:27]
	ds_write_b64 v197, v[6:7] offset:1440
	ds_write2_b64 v195, v[14:15], v[60:61] offset1:90
	v_fma_f64 v[6:7], v[54:55], s[8:9], v[26:27]
	v_add_f64 v[161:162], v[161:162], -v[10:11]
	ds_write_b64 v195, v[50:51] offset:1440
	v_add_f64 v[167:168], v[167:168], -v[0:1]
	ds_write2_b64 v185, v[48:49], v[52:53] offset1:90
	v_mul_u32_u24_e32 v48, 0x870, v102
	v_lshlrev_b32_sdwa v49, v148, v108 dst_sel:DWORD dst_unused:UNUSED_PAD src0_sel:DWORD src1_sel:WORD_0
	v_add_f64 v[14:15], v[44:45], v[10:11]
	v_fma_f64 v[26:27], v[99:100], s[6:7], v[62:63]
	v_fma_f64 v[60:61], v[171:172], s[6:7], v[4:5]
	;; [unrolled: 1-line block ×4, first 2 shown]
	ds_write_b64 v185, v[96:97] offset:1440
	ds_write2_b64 v186, v[46:47], v[183:184] offset1:90
	v_add_f64 v[46:47], v[38:39], v[34:35]
	v_add_f64 v[42:43], v[42:43], v[0:1]
	v_fma_f64 v[50:51], v[165:166], s[6:7], v[94:95]
	v_fma_f64 v[54:55], v[165:166], s[8:9], v[94:95]
	v_add_f64 v[62:63], v[22:23], v[92:93]
	v_add3_u32 v184, 0, v48, v49
	v_add_f64 v[48:49], v[90:91], v[76:77]
	v_add_f64 v[40:41], v[40:41], v[173:174]
	v_mul_u32_u24_e32 v52, 0x870, v107
	v_lshlrev_b32_sdwa v53, v148, v109 dst_sel:DWORD dst_unused:UNUSED_PAD src0_sel:DWORD src1_sel:WORD_0
	v_lshl_add_u32 v183, v106, 3, 0
	v_add_f64 v[92:93], v[92:93], v[88:89]
	ds_write_b64 v186, v[6:7] offset:1440
	v_add_f64 v[94:95], v[78:79], v[70:71]
	v_add3_u32 v196, 0, v52, v53
	v_add_nc_u32_e32 v198, 0x4000, v183
	ds_write2_b64 v184, v[14:15], v[26:27] offset1:90
	ds_write_b64 v184, v[44:45] offset:1440
	ds_write2_b64 v196, v[42:43], v[50:51] offset1:90
	ds_write_b64 v196, v[54:55] offset:1440
	ds_write2_b64 v198, v[40:41], v[60:61] offset0:112 offset1:202
	ds_write_b64 v183, v[4:5] offset:18720
	v_add_f64 v[4:5], v[2:3], v[38:39]
	v_fma_f64 v[2:3], v[46:47], -0.5, v[2:3]
	v_add_f64 v[42:43], v[36:37], -v[86:87]
	v_add_f64 v[40:41], v[62:63], v[88:89]
	v_add_f64 v[86:87], v[20:21], v[90:91]
	v_fma_f64 v[88:89], v[48:49], -0.5, v[20:21]
	v_add_f64 v[90:91], v[82:83], v[72:73]
	v_add_f64 v[82:83], v[177:178], v[82:83]
	v_fma_f64 v[6:7], v[92:93], -0.5, v[22:23]
	v_add_f64 v[92:93], v[80:81], v[68:69]
	v_add_f64 v[14:15], v[64:65], -v[66:67]
	v_add_f64 v[105:106], v[28:29], -v[32:33]
	v_add_f64 v[80:81], v[179:180], v[80:81]
	v_add_f64 v[107:108], v[30:31], -v[16:17]
	v_add_f64 v[78:79], v[181:182], v[78:79]
	v_fma_f64 v[94:95], v[94:95], -0.5, v[181:182]
	v_add_f64 v[109:110], v[187:188], v[159:160]
	v_add_f64 v[165:166], v[12:13], -v[8:9]
	v_add_f64 v[169:170], v[169:170], -v[173:174]
	s_waitcnt lgkmcnt(0)
	s_barrier
	buffer_gl0_inv
	v_add_f64 v[100:101], v[4:5], v[34:35]
	v_add_f64 v[4:5], v[159:160], v[149:150]
	v_fma_f64 v[102:103], v[42:43], s[8:9], v[2:3]
	v_fma_f64 v[42:43], v[42:43], s[6:7], v[2:3]
	v_add_f64 v[2:3], v[163:164], v[151:152]
	v_add_f64 v[76:77], v[86:87], v[76:77]
	v_fma_f64 v[86:87], v[84:85], s[8:9], v[88:89]
	v_fma_f64 v[84:85], v[84:85], s[6:7], v[88:89]
	v_fma_f64 v[88:89], v[90:91], -0.5, v[177:178]
	v_add_f64 v[90:91], v[153:154], v[157:158]
	v_add_f64 v[72:73], v[82:83], v[72:73]
	;; [unrolled: 1-line block ×3, first 2 shown]
	v_fma_f64 v[92:93], v[92:93], -0.5, v[179:180]
	v_add_f64 v[163:164], v[189:190], v[163:164]
	v_add_f64 v[153:154], v[191:192], v[153:154]
	;; [unrolled: 1-line block ×3, first 2 shown]
	v_fma_f64 v[96:97], v[14:15], s[8:9], v[6:7]
	v_fma_f64 v[98:99], v[14:15], s[6:7], v[6:7]
	v_add_f64 v[68:69], v[80:81], v[68:69]
	v_add_f64 v[70:71], v[78:79], v[70:71]
	v_fma_f64 v[78:79], v[74:75], s[8:9], v[94:95]
	v_fma_f64 v[74:75], v[74:75], s[6:7], v[94:95]
	v_add_f64 v[94:95], v[109:110], v[149:150]
	v_fma_f64 v[159:160], v[4:5], -0.5, v[187:188]
	ds_read_b64 v[64:65], v147
	ds_read_b64 v[60:61], v146
	;; [unrolled: 1-line block ×6, first 2 shown]
	v_fma_f64 v[171:172], v[2:3], -0.5, v[189:190]
	ds_read_b64 v[50:51], v138
	ds_read_b64 v[48:49], v140
	;; [unrolled: 1-line block ×4, first 2 shown]
	ds_read2_b64 v[36:39], v118 offset0:42 offset1:123
	ds_read2_b64 v[24:27], v119 offset0:84 offset1:165
	;; [unrolled: 1-line block ×4, first 2 shown]
	v_fma_f64 v[177:178], v[105:106], s[8:9], v[88:89]
	v_fma_f64 v[90:91], v[90:91], -0.5, v[191:192]
	v_fma_f64 v[88:89], v[105:106], s[6:7], v[88:89]
	v_fma_f64 v[82:83], v[82:83], -0.5, v[193:194]
	v_fma_f64 v[80:81], v[107:108], s[8:9], v[92:93]
	v_fma_f64 v[92:93], v[107:108], s[6:7], v[92:93]
	v_add_f64 v[109:110], v[163:164], v[151:152]
	v_add_f64 v[153:154], v[153:154], v[157:158]
	;; [unrolled: 1-line block ×3, first 2 shown]
	ds_read2_b64 v[28:31], v136 offset0:110 offset1:191
	ds_read2_b64 v[16:19], v137 offset0:152 offset1:233
	ds_read2_b64 v[12:15], v139 offset0:16 offset1:97
	ds_read2_b64 v[4:7], v141 offset0:58 offset1:139
	ds_read2_b64 v[0:3], v144 offset0:50 offset1:131
	ds_read2_b64 v[8:11], v145 offset0:92 offset1:173
	v_fma_f64 v[105:106], v[165:166], s[8:9], v[159:160]
	v_fma_f64 v[107:108], v[165:166], s[6:7], v[159:160]
	s_waitcnt lgkmcnt(0)
	v_fma_f64 v[149:150], v[161:162], s[8:9], v[171:172]
	v_fma_f64 v[151:152], v[161:162], s[6:7], v[171:172]
	s_barrier
	buffer_gl0_inv
	ds_write2_b64 v114, v[40:41], v[96:97] offset1:90
	v_fma_f64 v[157:158], v[167:168], s[8:9], v[90:91]
	v_fma_f64 v[90:91], v[167:168], s[6:7], v[90:91]
	v_fma_f64 v[159:160], v[169:170], s[8:9], v[82:83]
	v_fma_f64 v[40:41], v[169:170], s[6:7], v[82:83]
	ds_write_b64 v114, v[98:99] offset:1440
	ds_write2_b64 v111, v[100:101], v[102:103] offset1:90
	ds_write_b64 v111, v[42:43] offset:1440
	ds_write2_b64 v199, v[76:77], v[86:87] offset1:90
	;; [unrolled: 2-line block ×6, first 2 shown]
	v_lshlrev_b32_e32 v42, 1, v126
	v_mov_b32_e32 v43, v57
	ds_write_b64 v186, v[107:108] offset:1440
	ds_write2_b64 v184, v[109:110], v[149:150] offset1:90
	ds_write_b64 v184, v[151:152] offset:1440
	ds_write2_b64 v196, v[153:154], v[157:158] offset1:90
	v_lshlrev_b64 v[42:43], 4, v[42:43]
	ds_write_b64 v196, v[90:91] offset:1440
	ds_write2_b64 v198, v[155:156], v[159:160] offset0:112 offset1:202
	ds_write_b64 v183, v[40:41] offset:18720
	v_subrev_nc_u32_e32 v68, 27, v124
	v_lshlrev_b32_e32 v71, 1, v129
	v_add_co_u32 v149, s0, s12, v42
	v_add_co_ci_u32_e64 v150, s0, s13, v43, s0
	v_add_co_u32 v40, s0, 0x1000, v58
	v_add_co_ci_u32_e64 v41, s0, 0, v59, s0
	;; [unrolled: 2-line block ×4, first 2 shown]
	v_cmp_gt_u32_e64 s0, 27, v124
	v_mov_b32_e32 v72, v57
	v_mov_b32_e32 v88, v57
	s_waitcnt lgkmcnt(0)
	s_barrier
	v_cndmask_b32_e64 v68, v68, v125, s0
	v_add_co_u32 v85, s0, 0x1040, v149
	v_lshlrev_b64 v[71:72], 4, v[71:72]
	v_add_co_ci_u32_e64 v86, s0, 0, v150, s0
	v_lshlrev_b32_e32 v87, 1, v68
	buffer_gl0_inv
	s_clause 0x3
	global_load_dwordx4 v[73:76], v[40:41], off offset:64
	global_load_dwordx4 v[77:80], v[69:70], off offset:16
	;; [unrolled: 1-line block ×4, first 2 shown]
	v_add_co_u32 v151, s0, s12, v71
	v_lshlrev_b64 v[69:70], 4, v[87:88]
	v_add_co_ci_u32_e64 v152, s0, s13, v72, s0
	v_add_nc_u32_e32 v85, 0x6c, v56
	v_mov_b32_e32 v86, v57
	v_add_nc_u32_e32 v56, 0x10e, v56
	v_add_co_u32 v87, s0, s12, v69
	v_add_co_ci_u32_e64 v88, s0, s13, v70, s0
	v_add_co_u32 v69, s0, 0x1000, v151
	v_add_co_ci_u32_e64 v70, s0, 0, v152, s0
	;; [unrolled: 2-line block ×4, first 2 shown]
	v_add_co_u32 v97, s0, 0x1040, v87
	v_lshlrev_b64 v[101:102], 4, v[85:86]
	v_add_co_ci_u32_e64 v98, s0, 0, v88, s0
	s_clause 0x3
	global_load_dwordx4 v[85:88], v[69:70], off offset:64
	global_load_dwordx4 v[89:92], v[89:90], off offset:16
	;; [unrolled: 1-line block ×4, first 2 shown]
	v_lshlrev_b64 v[69:70], 4, v[56:57]
	v_mov_b32_e32 v111, 0x795d
	v_add_co_u32 v103, s0, s12, v101
	v_add_co_ci_u32_e64 v105, s0, s13, v102, s0
	v_add_co_u32 v69, s0, s12, v69
	v_add_co_ci_u32_e64 v106, s0, s13, v70, s0
	v_mul_u32_u24_sdwa v56, v128, v111 dst_sel:DWORD dst_unused:UNUSED_PAD src0_sel:WORD_0 src1_sel:DWORD
	v_mul_u32_u24_sdwa v70, v132, v111 dst_sel:DWORD dst_unused:UNUSED_PAD src0_sel:WORD_0 src1_sel:DWORD
	v_add_co_u32 v71, s0, 0x1000, v103
	v_add_co_ci_u32_e64 v72, s0, 0, v105, s0
	v_lshrrev_b32_e32 v56, 23, v56
	v_lshrrev_b32_e32 v70, 23, v70
	v_add_co_u32 v101, s0, 0x1000, v69
	v_add_co_ci_u32_e64 v102, s0, 0, v106, s0
	v_mul_lo_u16 v107, 0x10e, v56
	v_mul_lo_u16 v108, 0x10e, v70
	v_add_co_u32 v109, s0, 0x1040, v103
	v_add_co_ci_u32_e64 v110, s0, 0, v105, s0
	v_sub_nc_u16 v70, v128, v107
	v_sub_nc_u16 v103, v132, v108
	v_add_co_u32 v157, s0, 0x1040, v69
	v_add_co_ci_u32_e64 v158, s0, 0, v106, s0
	v_and_b32_e32 v69, 0xffff, v103
	s_clause 0x1
	global_load_dwordx4 v[105:108], v[71:72], off offset:64
	global_load_dwordx4 v[153:156], v[109:110], off offset:16
	v_lshlrev_b32_sdwa v71, v104, v70 dst_sel:DWORD dst_unused:UNUSED_PAD src0_sel:DWORD src1_sel:WORD_0
	v_mul_u32_u24_sdwa v110, v131, v111 dst_sel:DWORD dst_unused:UNUSED_PAD src0_sel:WORD_0 src1_sel:DWORD
	s_clause 0x1
	global_load_dwordx4 v[101:104], v[101:102], off offset:64
	global_load_dwordx4 v[157:160], v[157:158], off offset:16
	v_lshlrev_b32_e32 v72, 5, v69
	v_add_co_u32 v165, s0, s12, v71
	v_mul_u32_u24_sdwa v71, v133, v111 dst_sel:DWORD dst_unused:UNUSED_PAD src0_sel:WORD_0 src1_sel:DWORD
	v_add_co_ci_u32_e64 v166, null, s13, 0, s0
	v_add_co_u32 v167, s0, s12, v72
	v_lshrrev_b32_e32 v109, 23, v71
	v_add_co_ci_u32_e64 v168, null, s13, 0, s0
	v_add_co_u32 v71, s0, 0x1000, v165
	v_add_co_ci_u32_e64 v72, s0, 0, v166, s0
	v_mul_lo_u16 v111, 0x10e, v109
	v_add_co_u32 v109, s0, 0x1000, v167
	v_lshrrev_b32_e32 v169, 23, v110
	v_add_co_ci_u32_e64 v110, s0, 0, v168, s0
	v_add_co_u32 v165, s0, 0x1040, v165
	v_add_co_ci_u32_e64 v166, s0, 0, v166, s0
	v_add_co_u32 v173, s0, 0x1040, v167
	global_load_dwordx4 v[161:164], v[71:72], off offset:64
	v_add_co_ci_u32_e64 v174, s0, 0, v168, s0
	global_load_dwordx4 v[165:168], v[165:166], off offset:16
	v_mul_lo_u16 v72, 0x10e, v169
	v_sub_nc_u16 v71, v133, v111
	s_clause 0x1
	global_load_dwordx4 v[169:172], v[109:110], off offset:64
	global_load_dwordx4 v[173:176], v[173:174], off offset:16
	v_sub_nc_u16 v72, v131, v72
	v_and_b32_e32 v71, 0xffff, v71
	v_and_b32_e32 v72, 0xffff, v72
	v_lshlrev_b32_e32 v111, 5, v71
	v_lshlrev_b32_e32 v109, 5, v72
	v_add_co_u32 v111, s0, s12, v111
	v_add_co_ci_u32_e64 v183, null, s13, 0, s0
	v_add_co_u32 v184, s0, s12, v109
	v_add_co_ci_u32_e64 v185, null, s13, 0, s0
	v_add_co_u32 v109, s0, 0x1000, v111
	v_add_co_ci_u32_e64 v110, s0, 0, v183, s0
	v_add_co_u32 v181, s0, 0x1000, v184
	v_add_co_ci_u32_e64 v182, s0, 0, v185, s0
	global_load_dwordx4 v[177:180], v[109:110], off offset:64
	v_add_co_u32 v109, s0, 0x1040, v111
	v_add_co_ci_u32_e64 v110, s0, 0, v183, s0
	v_add_co_u32 v189, s0, 0x1040, v184
	v_add_co_ci_u32_e64 v190, s0, 0, v185, s0
	s_clause 0x2
	global_load_dwordx4 v[181:184], v[181:182], off offset:64
	global_load_dwordx4 v[185:188], v[109:110], off offset:16
	;; [unrolled: 1-line block ×3, first 2 shown]
	ds_read2_b64 v[193:196], v118 offset0:42 offset1:123
	ds_read2_b64 v[197:200], v119 offset0:84 offset1:165
	ds_read2_b64 v[201:204], v134 offset0:76 offset1:157
	ds_read2_b64 v[205:208], v135 offset0:118 offset1:199
	ds_read2_b64 v[209:212], v136 offset0:110 offset1:191
	ds_read2_b64 v[213:216], v137 offset0:152 offset1:233
	v_cmp_lt_u32_e64 s0, 26, v124
	s_waitcnt vmcnt(19) lgkmcnt(5)
	v_mul_f64 v[109:110], v[193:194], v[75:76]
	v_mul_f64 v[75:76], v[36:37], v[75:76]
	s_waitcnt vmcnt(17)
	v_mul_f64 v[217:218], v[195:196], v[83:84]
	v_mul_f64 v[83:84], v[38:39], v[83:84]
	s_waitcnt lgkmcnt(4)
	v_mul_f64 v[219:220], v[197:198], v[79:80]
	v_mul_f64 v[79:80], v[24:25], v[79:80]
	s_waitcnt vmcnt(16)
	v_mul_f64 v[221:222], v[199:200], v[42:43]
	v_mul_f64 v[42:43], v[26:27], v[42:43]
	v_fma_f64 v[223:224], v[36:37], v[73:74], -v[109:110]
	v_fma_f64 v[73:74], v[193:194], v[73:74], v[75:76]
	v_fma_f64 v[75:76], v[38:39], v[81:82], -v[217:218]
	v_fma_f64 v[195:196], v[195:196], v[81:82], v[83:84]
	ds_read2_b64 v[36:39], v139 offset0:16 offset1:97
	v_fma_f64 v[219:220], v[24:25], v[77:78], -v[219:220]
	v_fma_f64 v[77:78], v[197:198], v[77:78], v[79:80]
	v_fma_f64 v[221:222], v[26:27], v[40:41], -v[221:222]
	s_waitcnt vmcnt(15) lgkmcnt(4)
	v_mul_f64 v[109:110], v[201:202], v[87:88]
	v_mul_f64 v[87:88], v[20:21], v[87:88]
	s_waitcnt vmcnt(13)
	v_mul_f64 v[193:194], v[203:204], v[95:96]
	s_waitcnt lgkmcnt(3)
	v_mul_f64 v[82:83], v[205:206], v[91:92]
	s_waitcnt vmcnt(12)
	v_mul_f64 v[217:218], v[207:208], v[99:100]
	v_mul_f64 v[95:96], v[22:23], v[95:96]
	;; [unrolled: 1-line block ×4, first 2 shown]
	v_fma_f64 v[199:200], v[199:200], v[40:41], v[42:43]
	v_fma_f64 v[42:43], v[20:21], v[85:86], -v[109:110]
	v_fma_f64 v[20:21], v[201:202], v[85:86], v[87:88]
	v_fma_f64 v[80:81], v[22:23], v[93:94], -v[193:194]
	ds_read2_b64 v[22:25], v141 offset0:58 offset1:139
	v_fma_f64 v[84:85], v[32:33], v[89:90], -v[82:83]
	v_fma_f64 v[82:83], v[34:35], v[97:98], -v[217:218]
	v_fma_f64 v[86:87], v[203:204], v[93:94], v[95:96]
	v_fma_f64 v[92:93], v[205:206], v[89:90], v[91:92]
	;; [unrolled: 1-line block ×3, first 2 shown]
	s_waitcnt vmcnt(11) lgkmcnt(3)
	v_mul_f64 v[197:198], v[209:210], v[107:108]
	s_waitcnt vmcnt(10) lgkmcnt(2)
	v_mul_f64 v[227:228], v[213:214], v[155:156]
	v_mul_f64 v[155:156], v[16:17], v[155:156]
	s_waitcnt vmcnt(9)
	v_mul_f64 v[225:226], v[211:212], v[103:104]
	v_mul_f64 v[103:104], v[30:31], v[103:104]
	;; [unrolled: 1-line block ×3, first 2 shown]
	s_waitcnt vmcnt(8)
	v_mul_f64 v[109:110], v[215:216], v[159:160]
	v_mul_f64 v[159:160], v[18:19], v[159:160]
	v_fma_f64 v[88:89], v[28:29], v[105:106], -v[197:198]
	ds_read2_b64 v[26:29], v144 offset0:50 offset1:131
	v_fma_f64 v[96:97], v[16:17], v[153:154], -v[227:228]
	v_fma_f64 v[94:95], v[30:31], v[101:102], -v[225:226]
	ds_read2_b64 v[30:33], v145 offset0:92 offset1:173
	v_add_f64 v[16:17], v[223:224], v[219:220]
	v_fma_f64 v[98:99], v[211:212], v[101:102], v[103:104]
	v_fma_f64 v[100:101], v[213:214], v[153:154], v[155:156]
	;; [unrolled: 1-line block ×3, first 2 shown]
	v_fma_f64 v[104:105], v[18:19], v[157:158], -v[109:110]
	v_fma_f64 v[102:103], v[215:216], v[157:158], v[159:160]
	s_waitcnt vmcnt(7) lgkmcnt(3)
	v_mul_f64 v[193:194], v[36:37], v[163:164]
	v_mul_f64 v[163:164], v[12:13], v[163:164]
	v_add_f64 v[18:19], v[75:76], v[221:222]
	s_waitcnt vmcnt(6) lgkmcnt(2)
	v_mul_f64 v[155:156], v[22:23], v[167:168]
	v_mul_f64 v[157:158], v[4:5], v[167:168]
	s_waitcnt vmcnt(5)
	v_mul_f64 v[34:35], v[38:39], v[171:172]
	v_mul_f64 v[153:154], v[14:15], v[171:172]
	v_lshl_add_u32 v211, v71, 3, 0
	v_lshl_add_u32 v212, v72, 3, 0
	v_fma_f64 v[16:17], v[16:17], -0.5, v[66:67]
	v_add_f64 v[66:67], v[66:67], v[223:224]
	v_add_f64 v[201:202], v[90:91], v[100:101]
	;; [unrolled: 1-line block ×3, first 2 shown]
	v_fma_f64 v[106:107], v[12:13], v[161:162], -v[193:194]
	v_fma_f64 v[108:109], v[36:37], v[161:162], v[163:164]
	v_add_f64 v[36:37], v[80:81], v[82:83]
	v_add_f64 v[12:13], v[42:43], v[84:85]
	v_fma_f64 v[155:156], v[4:5], v[165:166], -v[155:156]
	v_fma_f64 v[110:111], v[14:15], v[169:170], -v[34:35]
	s_waitcnt vmcnt(4)
	v_mul_f64 v[14:15], v[24:25], v[175:176]
	v_mul_f64 v[34:35], v[6:7], v[175:176]
	v_add_f64 v[4:5], v[64:65], v[75:76]
	v_fma_f64 v[18:19], v[18:19], -0.5, v[64:65]
	v_fma_f64 v[153:154], v[38:39], v[169:170], v[153:154]
	v_add_f64 v[169:170], v[86:87], -v[40:41]
	v_add_f64 v[38:39], v[20:21], -v[92:93]
	v_fma_f64 v[157:158], v[22:23], v[165:166], v[157:158]
	s_waitcnt vmcnt(3) lgkmcnt(1)
	v_mul_f64 v[159:160], v[26:27], v[179:180]
	v_mul_f64 v[161:162], v[0:1], v[179:180]
	s_waitcnt vmcnt(2)
	v_mul_f64 v[163:164], v[28:29], v[183:184]
	s_waitcnt vmcnt(1) lgkmcnt(0)
	v_mul_f64 v[171:172], v[30:31], v[187:188]
	s_waitcnt vmcnt(0)
	v_mul_f64 v[179:180], v[32:33], v[191:192]
	v_mul_f64 v[175:176], v[8:9], v[187:188]
	v_add_f64 v[187:188], v[73:74], -v[77:78]
	v_mul_f64 v[167:168], v[2:3], v[183:184]
	v_mul_f64 v[183:184], v[10:11], v[191:192]
	v_add_f64 v[191:192], v[195:196], -v[199:200]
	v_fma_f64 v[36:37], v[36:37], -0.5, v[62:63]
	v_fma_f64 v[12:13], v[12:13], -0.5, v[60:61]
	v_fma_f64 v[165:166], v[6:7], v[173:174], -v[14:15]
	v_fma_f64 v[173:174], v[24:25], v[173:174], v[34:35]
	v_add_f64 v[24:25], v[62:63], v[80:81]
	v_add_f64 v[4:5], v[4:5], v[221:222]
	v_fma_f64 v[159:160], v[0:1], v[177:178], -v[159:160]
	v_fma_f64 v[161:162], v[26:27], v[177:178], v[161:162]
	v_add_f64 v[0:1], v[66:67], v[219:220]
	v_add_f64 v[34:35], v[54:55], v[88:89]
	;; [unrolled: 1-line block ×3, first 2 shown]
	v_add_f64 v[80:81], v[80:81], -v[82:83]
	v_fma_f64 v[163:164], v[2:3], v[181:182], -v[163:164]
	v_fma_f64 v[171:172], v[8:9], v[185:186], -v[171:172]
	;; [unrolled: 1-line block ×3, first 2 shown]
	v_add_f64 v[10:11], v[60:61], v[42:43]
	v_fma_f64 v[2:3], v[187:188], s[6:7], v[16:17]
	v_fma_f64 v[6:7], v[187:188], s[8:9], v[16:17]
	;; [unrolled: 1-line block ×8, first 2 shown]
	v_add_f64 v[28:29], v[88:89], v[96:97]
	v_add_f64 v[30:31], v[94:95], v[104:105]
	;; [unrolled: 1-line block ×3, first 2 shown]
	v_fma_f64 v[16:17], v[38:39], s[6:7], v[12:13]
	v_fma_f64 v[12:13], v[38:39], s[8:9], v[12:13]
	;; [unrolled: 1-line block ×3, first 2 shown]
	ds_read_b64 v[26:27], v147
	ds_read_b64 v[169:170], v146
	;; [unrolled: 1-line block ×10, first 2 shown]
	s_waitcnt lgkmcnt(0)
	s_barrier
	buffer_gl0_inv
	ds_write_b64 v114, v[0:1]
	ds_write_b64 v114, v[2:3] offset:2160
	ds_write_b64 v114, v[6:7] offset:4320
	ds_write_b64 v147, v[4:5]
	v_add_f64 v[10:11], v[10:11], v[84:85]
	v_add_f64 v[0:1], v[24:25], v[82:83]
	ds_write_b64 v147, v[8:9] offset:2160
	ds_write_b64 v147, v[14:15] offset:4320
	v_add_f64 v[4:5], v[90:91], -v[100:101]
	v_add_f64 v[8:9], v[98:99], -v[102:103]
	v_add_f64 v[14:15], v[106:107], v[155:156]
	v_fma_f64 v[2:3], v[28:29], -0.5, v[54:55]
	v_fma_f64 v[6:7], v[30:31], -0.5, v[52:53]
	v_add_f64 v[24:25], v[34:35], v[96:97]
	v_add_f64 v[28:29], v[110:111], v[165:166]
	;; [unrolled: 1-line block ×4, first 2 shown]
	ds_write_b64 v146, v[16:17] offset:2160
	v_add_f64 v[16:17], v[73:74], v[77:78]
	v_lshlrev_b32_e32 v38, 3, v68
	v_cndmask_b32_e64 v39, 0, 0x1950, s0
	v_lshl_add_u32 v52, v124, 3, 0
	v_add_f64 v[36:37], v[48:49], v[110:111]
	v_add_f64 v[197:198], v[169:170], v[20:21]
	v_add_f64 v[42:43], v[42:43], -v[84:85]
	ds_write_b64 v146, v[10:11]
	v_add_f64 v[10:11], v[159:160], v[171:172]
	v_add3_u32 v207, 0, v39, v38
	ds_write_b64 v146, v[12:13] offset:4320
	ds_write_b64 v207, v[0:1]
	ds_write_b64 v207, v[18:19] offset:2160
	v_add_f64 v[12:13], v[195:196], v[199:200]
	v_add_nc_u32_e32 v208, 0x1800, v52
	ds_write_b64 v207, v[22:23] offset:4320
	v_fma_f64 v[0:1], v[4:5], s[6:7], v[2:3]
	v_fma_f64 v[18:19], v[8:9], s[6:7], v[6:7]
	;; [unrolled: 1-line block ×4, first 2 shown]
	v_fma_f64 v[6:7], v[14:15], -0.5, v[50:51]
	v_add_f64 v[8:9], v[50:51], v[106:107]
	v_add_f64 v[14:15], v[108:109], -v[157:158]
	v_fma_f64 v[22:23], v[28:29], -0.5, v[48:49]
	v_add_f64 v[28:29], v[153:154], -v[173:174]
	ds_write2_b64 v208, v[24:25], v[30:31] offset0:96 offset1:177
	v_add_f64 v[30:31], v[32:33], v[73:74]
	v_fma_f64 v[34:35], v[34:35], -0.5, v[44:45]
	v_add_f64 v[48:49], v[167:168], -v[179:180]
	v_fma_f64 v[10:11], v[10:11], -0.5, v[46:47]
	v_add_f64 v[46:47], v[46:47], v[159:160]
	v_fma_f64 v[16:17], v[16:17], -0.5, v[32:33]
	v_add_f64 v[32:33], v[223:224], -v[219:220]
	v_add_f64 v[38:39], v[161:162], -v[175:176]
	v_add_f64 v[24:25], v[44:45], v[163:164]
	v_add_f64 v[44:45], v[26:27], v[195:196]
	v_fma_f64 v[12:13], v[12:13], -0.5, v[26:27]
	v_add_f64 v[26:27], v[75:76], -v[221:222]
	v_add_nc_u32_e32 v209, 0x2000, v52
	v_add_nc_u32_e32 v210, 0x2800, v52
	ds_write2_b64 v209, v[0:1], v[18:19] offset0:110 offset1:191
	ds_write2_b64 v210, v[2:3], v[4:5] offset0:124 offset1:205
	v_add_f64 v[0:1], v[8:9], v[155:156]
	v_fma_f64 v[2:3], v[14:15], s[6:7], v[6:7]
	v_fma_f64 v[4:5], v[14:15], s[8:9], v[6:7]
	;; [unrolled: 1-line block ×3, first 2 shown]
	v_add_f64 v[8:9], v[36:37], v[165:166]
	v_fma_f64 v[14:15], v[28:29], s[8:9], v[22:23]
	v_fma_f64 v[28:29], v[48:49], s[6:7], v[34:35]
	v_fma_f64 v[34:35], v[48:49], s[8:9], v[34:35]
	v_add_f64 v[22:23], v[46:47], v[171:172]
	v_add_f64 v[46:47], v[30:31], v[77:78]
	v_fma_f64 v[48:49], v[32:33], s[8:9], v[16:17]
	v_fma_f64 v[18:19], v[38:39], s[6:7], v[10:11]
	;; [unrolled: 1-line block ×4, first 2 shown]
	v_add_f64 v[24:25], v[24:25], v[177:178]
	v_add_f64 v[44:45], v[44:45], v[199:200]
	;; [unrolled: 1-line block ×3, first 2 shown]
	v_lshlrev_b32_sdwa v36, v148, v70 dst_sel:DWORD dst_unused:UNUSED_PAD src0_sel:DWORD src1_sel:WORD_0
	v_mul_u32_u24_e32 v37, 0x1950, v56
	v_add_f64 v[199:200], v[86:87], v[40:41]
	v_fma_f64 v[52:53], v[26:27], s[8:9], v[12:13]
	v_lshl_add_u32 v148, v69, 3, 0
	v_fma_f64 v[54:55], v[26:27], s[6:7], v[12:13]
	v_add3_u32 v56, 0, v37, v36
	ds_write_b64 v56, v[0:1]
	ds_write_b64 v56, v[2:3] offset:2160
	ds_write_b64 v56, v[4:5] offset:4320
	;; [unrolled: 1-line block ×11, first 2 shown]
	s_waitcnt lgkmcnt(0)
	s_barrier
	buffer_gl0_inv
	ds_read_b64 v[76:77], v147
	ds_read_b64 v[78:79], v146
	;; [unrolled: 1-line block ×10, first 2 shown]
	ds_read2_b64 v[24:27], v118 offset0:42 offset1:123
	ds_read2_b64 v[28:31], v119 offset0:84 offset1:165
	;; [unrolled: 1-line block ×10, first 2 shown]
	s_waitcnt lgkmcnt(0)
	s_barrier
	buffer_gl0_inv
	ds_write_b64 v114, v[46:47]
	ds_write_b64 v114, v[48:49] offset:2160
	v_add_f64 v[46:47], v[153:154], v[173:174]
	ds_write_b64 v114, v[50:51] offset:4320
	ds_write_b64 v147, v[44:45]
	v_add_f64 v[44:45], v[161:162], v[175:176]
	v_add_f64 v[50:51], v[167:168], v[179:180]
	v_fma_f64 v[48:49], v[195:196], -0.5, v[169:170]
	v_add_f64 v[84:85], v[181:182], v[86:87]
	v_fma_f64 v[86:87], v[199:200], -0.5, v[181:182]
	ds_write_b64 v147, v[52:53] offset:2160
	v_add_f64 v[52:53], v[197:198], v[92:93]
	v_add_f64 v[82:83], v[183:184], v[90:91]
	;; [unrolled: 1-line block ×3, first 2 shown]
	v_fma_f64 v[90:91], v[201:202], -0.5, v[183:184]
	v_add_f64 v[88:89], v[88:89], -v[96:97]
	v_fma_f64 v[96:97], v[203:204], -0.5, v[185:186]
	v_add_f64 v[94:95], v[94:95], -v[104:105]
	v_add_f64 v[98:99], v[187:188], v[108:109]
	v_fma_f64 v[104:105], v[205:206], -0.5, v[187:188]
	v_add_f64 v[106:107], v[106:107], -v[155:156]
	v_add_f64 v[108:109], v[189:190], v[153:154]
	v_add_f64 v[110:111], v[110:111], -v[165:166]
	v_add_f64 v[153:154], v[191:192], v[161:162]
	v_add_f64 v[155:156], v[159:160], -v[171:172]
	v_fma_f64 v[46:47], v[46:47], -0.5, v[189:190]
	v_add_f64 v[159:160], v[193:194], v[167:168]
	v_fma_f64 v[44:45], v[44:45], -0.5, v[191:192]
	v_fma_f64 v[50:51], v[50:51], -0.5, v[193:194]
	v_add_f64 v[161:162], v[163:164], -v[177:178]
	v_fma_f64 v[163:164], v[42:43], s[8:9], v[48:49]
	v_fma_f64 v[42:43], v[42:43], s[6:7], v[48:49]
	v_add_f64 v[40:41], v[84:85], v[40:41]
	v_fma_f64 v[48:49], v[80:81], s[8:9], v[86:87]
	v_fma_f64 v[80:81], v[80:81], s[6:7], v[86:87]
	v_add_f64 v[82:83], v[82:83], v[100:101]
	v_add_f64 v[84:85], v[92:93], v[102:103]
	v_fma_f64 v[86:87], v[88:89], s[8:9], v[90:91]
	v_fma_f64 v[88:89], v[88:89], s[6:7], v[90:91]
	;; [unrolled: 1-line block ×4, first 2 shown]
	v_add_f64 v[94:95], v[98:99], v[157:158]
	v_fma_f64 v[96:97], v[106:107], s[8:9], v[104:105]
	v_fma_f64 v[98:99], v[106:107], s[6:7], v[104:105]
	v_add_f64 v[100:101], v[108:109], v[173:174]
	v_add_f64 v[104:105], v[153:154], v[175:176]
	v_fma_f64 v[102:103], v[110:111], s[8:9], v[46:47]
	v_fma_f64 v[46:47], v[110:111], s[6:7], v[46:47]
	;; [unrolled: 1-line block ×4, first 2 shown]
	v_add_f64 v[108:109], v[159:160], v[179:180]
	v_fma_f64 v[110:111], v[161:162], s[8:9], v[50:51]
	v_fma_f64 v[50:51], v[161:162], s[6:7], v[50:51]
	ds_write_b64 v147, v[54:55] offset:4320
	ds_write_b64 v146, v[52:53]
	ds_write_b64 v146, v[163:164] offset:2160
	ds_write_b64 v146, v[42:43] offset:4320
	ds_write_b64 v207, v[40:41]
	ds_write_b64 v207, v[48:49] offset:2160
	ds_write_b64 v207, v[80:81] offset:4320
	ds_write2_b64 v208, v[82:83], v[84:85] offset0:96 offset1:177
	ds_write2_b64 v209, v[86:87], v[90:91] offset0:110 offset1:191
	;; [unrolled: 1-line block ×3, first 2 shown]
	ds_write_b64 v56, v[94:95]
	ds_write_b64 v56, v[96:97] offset:2160
	ds_write_b64 v56, v[98:99] offset:4320
	;; [unrolled: 1-line block ×11, first 2 shown]
	s_waitcnt lgkmcnt(0)
	s_barrier
	buffer_gl0_inv
	s_and_saveexec_b32 s0, vcc_lo
	s_cbranch_execz .LBB0_15
; %bb.14:
	v_lshlrev_b32_e32 v56, 1, v131
	v_mul_i32_i24_e32 v206, 0xffffffb8, v126
	v_mul_lo_u32 v207, s5, v122
	v_mul_lo_u32 v208, s4, v123
	v_add_nc_u32_e32 v210, 0x51, v124
	v_lshlrev_b64 v[40:41], 4, v[56:57]
	v_lshlrev_b32_e32 v56, 1, v133
	v_mul_i32_i24_e32 v129, 0xffffffb8, v129
	v_add_nc_u32_e32 v112, v112, v206
	v_mul_hi_u32 v209, 0x50e89cc3, v210
	v_add_nc_u32_e32 v238, 0xa2, v124
	v_add_co_u32 v42, vcc_lo, s12, v40
	v_add_co_ci_u32_e32 v43, vcc_lo, s13, v41, vcc_lo
	v_lshlrev_b64 v[40:41], 4, v[56:57]
	v_add_co_u32 v44, vcc_lo, 0x3200, v42
	v_add_co_ci_u32_e32 v45, vcc_lo, 0, v43, vcc_lo
	v_add_co_u32 v42, vcc_lo, 0x3000, v42
	v_add_co_ci_u32_e32 v43, vcc_lo, 0, v43, vcc_lo
	v_add_co_u32 v50, vcc_lo, s12, v40
	v_lshlrev_b32_e32 v56, 1, v132
	v_add_co_ci_u32_e32 v51, vcc_lo, s13, v41, vcc_lo
	v_add_co_u32 v52, vcc_lo, 0x3200, v50
	v_lshlrev_b64 v[48:49], 4, v[56:57]
	v_add_co_ci_u32_e32 v53, vcc_lo, 0, v51, vcc_lo
	v_add_co_u32 v50, vcc_lo, 0x3000, v50
	v_add_co_ci_u32_e32 v51, vcc_lo, 0, v51, vcc_lo
	v_add_co_u32 v82, vcc_lo, s12, v48
	v_add_co_ci_u32_e32 v83, vcc_lo, s13, v49, vcc_lo
	v_lshlrev_b32_e32 v56, 1, v128
	v_add_co_u32 v108, vcc_lo, 0x3200, v82
	v_add_co_ci_u32_e32 v109, vcc_lo, 0, v83, vcc_lo
	v_add_co_u32 v84, vcc_lo, 0x3200, v151
	v_add_co_ci_u32_e32 v85, vcc_lo, 0, v152, vcc_lo
	v_add_co_u32 v80, vcc_lo, 0x3000, v151
	v_add_co_ci_u32_e32 v81, vcc_lo, 0, v152, vcc_lo
	v_add_co_u32 v104, vcc_lo, 0x3000, v82
	v_add_co_ci_u32_e32 v105, vcc_lo, 0, v83, vcc_lo
	v_add_co_u32 v92, vcc_lo, 0x3200, v149
	v_add_co_ci_u32_e32 v93, vcc_lo, 0, v150, vcc_lo
	v_add_co_u32 v90, vcc_lo, 0x3000, v149
	v_add_co_ci_u32_e32 v91, vcc_lo, 0, v150, vcc_lo
	v_lshlrev_b64 v[88:89], 4, v[56:57]
	v_add_co_u32 v100, vcc_lo, 0x3200, v58
	v_add_co_ci_u32_e32 v101, vcc_lo, 0, v59, vcc_lo
	v_add_co_u32 v58, vcc_lo, 0x3000, v58
	v_add_co_ci_u32_e32 v59, vcc_lo, 0, v59, vcc_lo
	v_add_co_u32 v106, vcc_lo, s12, v88
	v_lshlrev_b32_e32 v56, 1, v130
	v_add_co_ci_u32_e32 v107, vcc_lo, s13, v89, vcc_lo
	s_clause 0x9
	global_load_dwordx4 v[40:43], v[42:43], off offset:512
	global_load_dwordx4 v[44:47], v[44:45], off offset:16
	;; [unrolled: 1-line block ×10, first 2 shown]
	v_add_co_u32 v58, vcc_lo, 0x3000, v106
	v_lshlrev_b64 v[150:151], 4, v[56:57]
	v_add_co_ci_u32_e32 v59, vcc_lo, 0, v107, vcc_lo
	v_add_co_u32 v146, vcc_lo, 0x3200, v106
	v_add_co_ci_u32_e32 v147, vcc_lo, 0, v107, vcc_lo
	v_add_co_u32 v150, vcc_lo, s12, v150
	v_lshlrev_b32_e32 v56, 1, v127
	v_add_co_ci_u32_e32 v151, vcc_lo, s13, v151, vcc_lo
	s_clause 0x3
	global_load_dwordx4 v[104:107], v[104:105], off offset:512
	global_load_dwordx4 v[108:111], v[108:109], off offset:16
	;; [unrolled: 1-line block ×4, first 2 shown]
	v_add_co_u32 v58, vcc_lo, 0x3200, v150
	v_lshlrev_b64 v[127:128], 4, v[56:57]
	v_add_co_ci_u32_e32 v59, vcc_lo, 0, v151, vcc_lo
	v_add_co_u32 v150, vcc_lo, 0x3000, v150
	v_add_co_ci_u32_e32 v151, vcc_lo, 0, v151, vcc_lo
	v_add_co_u32 v56, vcc_lo, s12, v127
	v_add_co_ci_u32_e32 v128, vcc_lo, s13, v128, vcc_lo
	s_clause 0x1
	global_load_dwordx4 v[150:153], v[150:151], off offset:512
	global_load_dwordx4 v[154:157], v[58:59], off offset:16
	v_add_co_u32 v58, vcc_lo, 0x3000, v56
	v_add_co_ci_u32_e32 v59, vcc_lo, 0, v128, vcc_lo
	v_add_co_u32 v127, vcc_lo, 0x3200, v56
	v_lshlrev_b32_e32 v56, 1, v125
	v_add_co_ci_u32_e32 v128, vcc_lo, 0, v128, vcc_lo
	s_clause 0x1
	global_load_dwordx4 v[158:161], v[58:59], off offset:512
	global_load_dwordx4 v[162:165], v[127:128], off offset:16
	v_lshlrev_b64 v[56:57], 4, v[56:57]
	v_add_nc_u32_e32 v129, v113, v129
	v_mul_hi_u32 v211, 0x50e89cc3, v238
	v_add_co_u32 v58, vcc_lo, s12, v56
	v_add_co_ci_u32_e32 v59, vcc_lo, s13, v57, vcc_lo
	v_lshrrev_b32_e32 v239, 8, v211
	v_add_co_u32 v56, vcc_lo, 0x3000, v58
	v_add_co_ci_u32_e32 v57, vcc_lo, 0, v59, vcc_lo
	v_add_co_u32 v58, vcc_lo, 0x3200, v58
	v_add_co_ci_u32_e32 v59, vcc_lo, 0, v59, vcc_lo
	s_clause 0x1
	global_load_dwordx4 v[166:169], v[56:57], off offset:512
	global_load_dwordx4 v[170:173], v[58:59], off offset:16
	v_mad_u64_u32 v[56:57], null, s4, v122, 0
	ds_read2_b64 v[125:128], v144 offset0:50 offset1:131
	ds_read2_b64 v[174:177], v145 offset0:92 offset1:173
	;; [unrolled: 1-line block ×4, first 2 shown]
	ds_read_b64 v[58:59], v143
	ds_read_b64 v[122:123], v142
	;; [unrolled: 1-line block ×4, first 2 shown]
	ds_read2_b64 v[138:141], v136 offset0:110 offset1:191
	ds_read2_b64 v[142:145], v137 offset0:152 offset1:233
	;; [unrolled: 1-line block ×6, first 2 shown]
	v_mul_hi_u32 v119, 0x50e89cc3, v124
	ds_read_b64 v[117:118], v117
	ds_read_b64 v[202:203], v116
	;; [unrolled: 1-line block ×4, first 2 shown]
	v_lshlrev_b64 v[113:114], 4, v[120:121]
	v_mul_u32_u24_e32 v240, 0x32a, v239
	v_add3_u32 v57, v57, v208, v207
	ds_read_b64 v[206:207], v112
	v_lshrrev_b32_e32 v119, 8, v119
	v_lshlrev_b64 v[56:57], 4, v[56:57]
	v_mul_u32_u24_e32 v121, 0x32a, v119
	ds_read_b64 v[119:120], v129
	v_lshrrev_b32_e32 v129, 8, v209
	v_add_co_u32 v222, vcc_lo, s10, v56
	v_sub_nc_u32_e32 v112, v124, v121
	v_add_co_ci_u32_e32 v223, vcc_lo, s11, v57, vcc_lo
	v_mul_u32_u24_e32 v121, 0x32a, v129
	v_mad_u64_u32 v[208:209], null, s2, v112, 0
	v_add_nc_u32_e32 v219, 0x32a, v112
	v_add_nc_u32_e32 v221, 0x654, v112
	v_sub_nc_u32_e32 v121, v210, v121
	v_mad_u64_u32 v[210:211], null, s2, v219, 0
	v_mad_u64_u32 v[212:213], null, s2, v221, 0
	v_mov_b32_e32 v56, v209
	v_mad_u32_u24 v241, 0x97e, v129, v121
	v_mad_u64_u32 v[216:217], null, s3, v112, v[56:57]
	v_mov_b32_e32 v56, v211
	v_mov_b32_e32 v57, v213
	v_mad_u64_u32 v[214:215], null, s2, v241, 0
	v_add_nc_u32_e32 v121, 0x32a, v241
	v_mad_u64_u32 v[219:220], null, s3, v219, v[56:57]
	s_waitcnt lgkmcnt(15)
	v_mad_u64_u32 v[220:221], null, s3, v221, v[57:58]
	v_mad_u64_u32 v[217:218], null, s2, v121, 0
	v_mov_b32_e32 v112, v215
	v_add_co_u32 v56, vcc_lo, v222, v113
	v_add_co_ci_u32_e32 v57, vcc_lo, v223, v114, vcc_lo
	v_mov_b32_e32 v209, v216
	v_mad_u64_u32 v[215:216], null, s3, v241, v[112:113]
	v_mov_b32_e32 v112, v218
	v_mov_b32_e32 v211, v219
	;; [unrolled: 1-line block ×3, first 2 shown]
	v_lshlrev_b64 v[113:114], 4, v[208:209]
	v_mad_u64_u32 v[208:209], null, s3, v121, v[112:113]
	v_add_co_u32 v112, vcc_lo, v56, v113
	v_add_co_ci_u32_e32 v113, vcc_lo, v57, v114, vcc_lo
	v_lshlrev_b64 v[209:210], 4, v[210:211]
	v_lshlrev_b64 v[211:212], 4, v[212:213]
	v_add_co_u32 v209, vcc_lo, v56, v209
	v_add_co_ci_u32_e32 v210, vcc_lo, v57, v210, vcc_lo
	s_waitcnt vmcnt(19)
	v_mul_f64 v[230:231], v[42:43], v[127:128]
	s_waitcnt vmcnt(13) lgkmcnt(7)
	v_mul_f64 v[222:223], v[90:91], v[192:193]
	v_mul_f64 v[218:219], v[82:83], v[186:187]
	;; [unrolled: 1-line block ×5, first 2 shown]
	s_waitcnt vmcnt(12) lgkmcnt(6)
	v_mul_f64 v[224:225], v[94:95], v[196:197]
	v_mul_f64 v[192:193], v[88:89], v[192:193]
	;; [unrolled: 1-line block ×3, first 2 shown]
	s_waitcnt vmcnt(11)
	v_mul_f64 v[226:227], v[98:99], v[190:191]
	s_waitcnt vmcnt(10)
	v_mul_f64 v[228:229], v[102:103], v[194:195]
	v_mul_f64 v[190:191], v[96:97], v[190:191]
	;; [unrolled: 1-line block ×10, first 2 shown]
	v_fma_f64 v[40:41], v[34:35], v[40:41], -v[230:231]
	v_fma_f64 v[80:81], v[0:1], v[80:81], -v[218:219]
	;; [unrolled: 1-line block ×3, first 2 shown]
	v_fma_f64 v[0:1], v[0:1], v[82:83], v[186:187]
	v_fma_f64 v[4:5], v[4:5], v[86:87], v[134:135]
	v_fma_f64 v[82:83], v[26:27], v[88:89], -v[222:223]
	v_fma_f64 v[86:87], v[30:31], v[92:93], -v[224:225]
	v_fma_f64 v[26:27], v[26:27], v[90:91], v[192:193]
	v_fma_f64 v[30:31], v[30:31], v[94:95], v[196:197]
	v_fma_f64 v[88:89], v[24:25], v[96:97], -v[226:227]
	v_fma_f64 v[90:91], v[28:29], v[100:101], -v[228:229]
	v_fma_f64 v[24:25], v[24:25], v[98:99], v[190:191]
	v_fma_f64 v[28:29], v[28:29], v[102:103], v[194:195]
	s_waitcnt vmcnt(9)
	v_mul_f64 v[92:93], v[106:107], v[180:181]
	s_waitcnt vmcnt(8)
	v_mul_f64 v[94:95], v[110:111], v[184:185]
	v_mul_f64 v[96:97], v[104:105], v[180:181]
	v_mul_f64 v[98:99], v[108:109], v[184:185]
	s_waitcnt vmcnt(7)
	v_mul_f64 v[100:101], v[132:133], v[178:179]
	s_waitcnt vmcnt(6)
	v_mul_f64 v[102:103], v[148:149], v[182:183]
	v_mul_f64 v[134:135], v[130:131], v[178:179]
	v_mul_f64 v[178:179], v[146:147], v[182:183]
	;; [unrolled: 6-line block ×3, first 2 shown]
	v_fma_f64 v[184:185], v[38:39], v[44:45], -v[232:233]
	v_fma_f64 v[34:35], v[34:35], v[42:43], v[127:128]
	v_fma_f64 v[38:39], v[38:39], v[46:47], v[176:177]
	s_waitcnt vmcnt(3)
	v_mul_f64 v[42:43], v[160:161], v[138:139]
	s_waitcnt vmcnt(2)
	v_mul_f64 v[44:45], v[164:165], v[142:143]
	v_mul_f64 v[46:47], v[158:159], v[138:139]
	;; [unrolled: 1-line block ×3, first 2 shown]
	v_fma_f64 v[48:49], v[32:33], v[48:49], -v[234:235]
	v_fma_f64 v[52:53], v[36:37], v[52:53], -v[236:237]
	v_fma_f64 v[32:33], v[32:33], v[50:51], v[125:126]
	v_fma_f64 v[36:37], v[36:37], v[54:55], v[174:175]
	v_add_f64 v[54:55], v[80:81], -v[84:85]
	v_add_f64 v[50:51], v[0:1], v[4:5]
	s_waitcnt lgkmcnt(0)
	v_add_f64 v[125:126], v[0:1], v[119:120]
	v_add_f64 v[138:139], v[80:81], v[84:85]
	v_add_f64 v[142:143], v[0:1], -v[4:5]
	v_add_f64 v[0:1], v[78:79], v[80:81]
	v_add_f64 v[80:81], v[82:83], -v[86:87]
	v_add_f64 v[174:175], v[26:27], v[30:31]
	v_add_f64 v[186:187], v[82:83], v[86:87]
	;; [unrolled: 1-line block ×3, first 2 shown]
	v_add_f64 v[190:191], v[88:89], -v[90:91]
	v_add_f64 v[192:193], v[24:25], v[28:29]
	v_add_f64 v[194:195], v[24:25], v[204:205]
	;; [unrolled: 1-line block ×4, first 2 shown]
	s_waitcnt vmcnt(1)
	v_mul_f64 v[218:219], v[168:169], v[188:189]
	s_waitcnt vmcnt(0)
	v_mul_f64 v[220:221], v[172:173], v[136:137]
	v_mul_f64 v[188:189], v[166:167], v[188:189]
	;; [unrolled: 1-line block ×3, first 2 shown]
	v_add_f64 v[176:177], v[26:27], v[206:207]
	v_add_f64 v[24:25], v[24:25], -v[28:29]
	v_fma_f64 v[92:93], v[18:19], v[104:105], -v[92:93]
	v_fma_f64 v[94:95], v[22:23], v[108:109], -v[94:95]
	v_fma_f64 v[18:19], v[18:19], v[106:107], v[96:97]
	v_fma_f64 v[22:23], v[22:23], v[110:111], v[98:99]
	v_fma_f64 v[96:97], v[16:17], v[130:131], -v[100:101]
	v_fma_f64 v[98:99], v[20:21], v[146:147], -v[102:103]
	v_fma_f64 v[16:17], v[16:17], v[132:133], v[134:135]
	v_fma_f64 v[100:101], v[10:11], v[150:151], -v[180:181]
	v_fma_f64 v[102:103], v[14:15], v[154:155], -v[182:183]
	v_fma_f64 v[10:11], v[10:11], v[152:153], v[140:141]
	v_fma_f64 v[104:105], v[14:15], v[156:157], v[144:145]
	v_add_f64 v[110:111], v[34:35], v[58:59]
	v_add_f64 v[129:130], v[40:41], v[184:185]
	v_fma_f64 v[133:134], v[8:9], v[158:159], -v[42:43]
	v_fma_f64 v[140:141], v[12:13], v[162:163], -v[44:45]
	v_fma_f64 v[8:9], v[8:9], v[160:161], v[46:47]
	v_fma_f64 v[127:128], v[12:13], v[164:165], v[127:128]
	v_add_f64 v[42:43], v[4:5], v[125:126]
	v_fma_f64 v[4:5], v[138:139], -0.5, v[78:79]
	v_fma_f64 v[78:79], v[174:175], -0.5, v[206:207]
	v_add_f64 v[44:45], v[82:83], v[86:87]
	v_fma_f64 v[82:83], v[192:193], -0.5, v[204:205]
	v_add_f64 v[14:15], v[28:29], v[194:195]
	;; [unrolled: 2-line block ×3, first 2 shown]
	v_fma_f64 v[88:89], v[2:3], v[168:169], v[188:189]
	v_fma_f64 v[125:126], v[6:7], v[172:173], v[136:137]
	v_add_f64 v[146:147], v[32:33], v[36:37]
	v_add_f64 v[26:27], v[26:27], -v[30:31]
	v_fma_f64 v[20:21], v[20:21], v[148:149], v[178:179]
	v_add_f64 v[106:107], v[40:41], -v[184:185]
	v_add_f64 v[108:109], v[34:35], v[38:39]
	v_add_f64 v[34:35], v[34:35], -v[38:39]
	v_add_f64 v[131:132], v[72:73], v[40:41]
	v_fma_f64 v[119:120], v[50:51], -0.5, v[119:120]
	v_add_f64 v[40:41], v[0:1], v[84:85]
	v_add_f64 v[46:47], v[30:31], v[176:177]
	v_fma_f64 v[30:31], v[186:187], -0.5, v[76:77]
	v_fma_f64 v[86:87], v[2:3], v[166:167], -v[218:219]
	v_fma_f64 v[90:91], v[6:7], v[170:171], -v[220:221]
	v_add_f64 v[164:165], v[100:101], -v[102:103]
	v_add_f64 v[168:169], v[100:101], v[102:103]
	v_add_f64 v[100:101], v[64:65], v[100:101]
	v_add_f64 v[2:3], v[38:39], v[110:111]
	v_fma_f64 v[38:39], v[129:130], -0.5, v[72:73]
	v_add_f64 v[110:111], v[8:9], v[127:128]
	v_fma_f64 v[72:73], v[80:81], s[6:7], v[78:79]
	v_fma_f64 v[76:77], v[80:81], s[8:9], v[78:79]
	;; [unrolled: 1-line block ×6, first 2 shown]
	v_add_f64 v[28:29], v[88:89], v[125:126]
	v_add_f64 v[148:149], v[32:33], v[122:123]
	;; [unrolled: 1-line block ×3, first 2 shown]
	v_add_f64 v[144:145], v[48:49], -v[52:53]
	v_add_f64 v[6:7], v[18:19], v[22:23]
	v_add_f64 v[137:138], v[18:19], v[198:199]
	v_add_f64 v[154:155], v[18:19], -v[22:23]
	v_add_f64 v[18:19], v[68:69], v[92:93]
	v_fma_f64 v[121:122], v[146:147], -0.5, v[122:123]
	v_add_f64 v[135:136], v[92:93], -v[94:95]
	v_add_f64 v[152:153], v[92:93], v[94:95]
	v_add_f64 v[92:93], v[96:97], -v[98:99]
	v_add_f64 v[156:157], v[16:17], v[20:21]
	v_add_f64 v[158:159], v[16:17], v[200:201]
	;; [unrolled: 1-line block ×3, first 2 shown]
	v_add_f64 v[162:163], v[16:17], -v[20:21]
	v_add_f64 v[16:17], v[66:67], v[96:97]
	v_add_f64 v[96:97], v[10:11], v[104:105]
	v_fma_f64 v[50:51], v[54:55], s[6:7], v[119:120]
	v_fma_f64 v[54:55], v[54:55], s[8:9], v[119:120]
	global_store_dwordx4 v[112:113], v[12:15], off
	v_add_f64 v[119:120], v[86:87], -v[90:91]
	v_add_f64 v[112:113], v[86:87], v[90:91]
	v_add_f64 v[146:147], v[60:61], v[86:87]
	;; [unrolled: 1-line block ×3, first 2 shown]
	v_fma_f64 v[102:103], v[110:111], -0.5, v[202:203]
	v_fma_f64 v[110:111], v[28:29], -0.5, v[115:116]
	v_add_f64 v[32:33], v[32:33], -v[36:37]
	v_add_f64 v[48:49], v[70:71], v[48:49]
	v_add_f64 v[166:167], v[10:11], v[117:118]
	v_add_f64 v[170:171], v[10:11], -v[104:105]
	v_add_f64 v[10:11], v[36:37], v[148:149]
	v_fma_f64 v[36:37], v[150:151], -0.5, v[70:71]
	v_fma_f64 v[70:71], v[26:27], s[8:9], v[30:31]
	v_fma_f64 v[74:75], v[26:27], s[6:7], v[30:31]
	v_add_f64 v[30:31], v[88:89], v[115:116]
	v_add_f64 v[26:27], v[22:23], v[137:138]
	;; [unrolled: 1-line block ×3, first 2 shown]
	v_fma_f64 v[18:19], v[144:145], s[6:7], v[121:122]
	v_fma_f64 v[22:23], v[144:145], s[8:9], v[121:122]
	v_add_nc_u32_e32 v122, 0x654, v241
	v_fma_f64 v[150:151], v[160:161], -0.5, v[66:67]
	v_add_f64 v[66:67], v[16:17], v[98:99]
	v_fma_f64 v[98:99], v[96:97], -0.5, v[117:118]
	v_fma_f64 v[114:115], v[112:113], -0.5, v[60:61]
	v_sub_nc_u32_e32 v123, v238, v240
	v_add_co_u32 v118, vcc_lo, v56, v211
	v_fma_f64 v[112:113], v[119:120], s[6:7], v[110:111]
	v_fma_f64 v[116:117], v[119:120], s[8:9], v[110:111]
	v_mad_u64_u32 v[120:121], null, s2, v122, 0
	v_add_f64 v[129:130], v[8:9], v[202:203]
	v_add_f64 v[172:173], v[8:9], -v[127:128]
	v_add_f64 v[8:9], v[48:49], v[52:53]
	v_fma_f64 v[48:49], v[142:143], s[8:9], v[4:5]
	v_fma_f64 v[52:53], v[142:143], s[6:7], v[4:5]
	v_add_f64 v[142:143], v[88:89], -v[125:126]
	v_add_f64 v[60:61], v[125:126], v[30:31]
	global_store_dwordx4 v[209:210], v[82:85], off
	v_mad_u32_u24 v125, 0x97e, v239, v123
	v_mov_b32_e32 v84, v121
	v_add_co_ci_u32_e32 v119, vcc_lo, v57, v212, vcc_lo
	v_mov_b32_e32 v218, v208
	v_mad_u64_u32 v[82:83], null, s2, v125, 0
	v_mad_u64_u32 v[84:85], null, s3, v122, v[84:85]
	global_store_dwordx4 v[118:119], v[78:81], off
	v_lshlrev_b64 v[78:79], 4, v[214:215]
	v_lshlrev_b64 v[80:81], 4, v[217:218]
	v_add_nc_u32_e32 v85, 0x32a, v125
	v_fma_f64 v[58:59], v[108:109], -0.5, v[58:59]
	v_fma_f64 v[148:149], v[6:7], -0.5, v[198:199]
	v_mad_u64_u32 v[118:119], null, s3, v125, v[83:84]
	v_add_co_u32 v78, vcc_lo, v56, v78
	v_add_co_ci_u32_e32 v79, vcc_lo, v57, v79, vcc_lo
	v_add_nc_u32_e32 v119, 0xf3, v124
	v_mad_u64_u32 v[122:123], null, s2, v85, 0
	global_store_dwordx4 v[78:79], v[44:47], off
	v_add_co_u32 v80, vcc_lo, v56, v80
	v_mul_hi_u32 v47, 0x50e89cc3, v119
	v_mov_b32_e32 v121, v84
	v_add_co_ci_u32_e32 v81, vcc_lo, v57, v81, vcc_lo
	v_add_nc_u32_e32 v78, 0x654, v125
	v_mov_b32_e32 v46, v123
	v_lshlrev_b64 v[44:45], 4, v[120:121]
	global_store_dwordx4 v[80:81], v[74:77], off
	v_lshrrev_b32_e32 v79, 8, v47
	v_mad_u64_u32 v[74:75], null, s2, v78, 0
	v_mov_b32_e32 v83, v118
	v_add_co_u32 v44, vcc_lo, v56, v44
	v_mul_u32_u24_e32 v80, 0x32a, v79
	v_mad_u64_u32 v[46:47], null, s3, v85, v[46:47]
	v_add_co_ci_u32_e32 v45, vcc_lo, v57, v45, vcc_lo
	v_sub_nc_u32_e32 v80, v119, v80
	v_lshlrev_b64 v[76:77], 4, v[82:83]
	v_mov_b32_e32 v47, v75
	global_store_dwordx4 v[44:45], v[70:73], off
	v_add_nc_u32_e32 v72, 0x144, v124
	v_mad_u32_u24 v79, 0x97e, v79, v80
	v_mov_b32_e32 v123, v46
	v_add_co_u32 v75, vcc_lo, v56, v76
	v_mad_u64_u32 v[46:47], null, s3, v78, v[47:48]
	v_add_co_ci_u32_e32 v76, vcc_lo, v57, v77, vcc_lo
	v_mad_u64_u32 v[77:78], null, s2, v79, 0
	v_add_nc_u32_e32 v47, 0x32a, v79
	v_mul_hi_u32 v45, 0x50e89cc3, v72
	global_store_dwordx4 v[75:76], v[40:43], off
	v_mov_b32_e32 v75, v46
	v_lshlrev_b64 v[40:41], 4, v[122:123]
	v_mad_u64_u32 v[43:44], null, s2, v47, 0
	v_mov_b32_e32 v42, v78
	v_fma_f64 v[6:7], v[106:107], s[6:7], v[58:59]
	v_lshrrev_b32_e32 v73, 8, v45
	v_lshlrev_b64 v[45:46], 4, v[74:75]
	v_add_co_u32 v40, vcc_lo, v56, v40
	v_mad_u64_u32 v[70:71], null, s3, v79, v[42:43]
	v_mov_b32_e32 v42, v44
	v_mul_u32_u24_e32 v71, 0x32a, v73
	v_add_co_ci_u32_e32 v41, vcc_lo, v57, v41, vcc_lo
	v_add_co_u32 v44, vcc_lo, v56, v45
	v_add_co_ci_u32_e32 v45, vcc_lo, v57, v46, vcc_lo
	v_mad_u64_u32 v[46:47], null, s3, v47, v[42:43]
	v_sub_nc_u32_e32 v42, v72, v71
	global_store_dwordx4 v[40:41], v[52:55], off
	global_store_dwordx4 v[44:45], v[48:51], off
	v_add_nc_u32_e32 v49, 0x654, v79
	v_add_nc_u32_e32 v53, 0x195, v124
	v_mov_b32_e32 v78, v70
	v_mad_u32_u24 v52, 0x97e, v73, v42
	v_mov_b32_e32 v44, v46
	v_mad_u64_u32 v[45:46], null, s2, v49, 0
	v_fma_f64 v[14:15], v[106:107], s[8:9], v[58:59]
	v_mad_u64_u32 v[47:48], null, s2, v52, 0
	v_add_f64 v[58:59], v[146:147], v[90:91]
	v_fma_f64 v[110:111], v[142:143], s[8:9], v[114:115]
	v_fma_f64 v[114:115], v[142:143], s[6:7], v[114:115]
	v_mul_hi_u32 v51, 0x50e89cc3, v53
	v_lshlrev_b64 v[43:44], 4, v[43:44]
	v_mov_b32_e32 v42, v46
	v_lshlrev_b64 v[40:41], 4, v[77:78]
	v_mov_b32_e32 v46, v48
	v_add_nc_u32_e32 v54, 0x32a, v52
	v_add_f64 v[0:1], v[131:132], v[184:185]
	v_mad_u64_u32 v[48:49], null, s3, v49, v[42:43]
	v_mad_u64_u32 v[49:50], null, s3, v52, v[46:47]
	v_add_co_u32 v40, vcc_lo, v56, v40
	v_lshrrev_b32_e32 v55, 8, v51
	v_add_f64 v[108:109], v[133:134], -v[140:141]
	v_add_f64 v[131:132], v[133:134], v[140:141]
	v_add_f64 v[133:134], v[62:63], v[133:134]
	v_add_co_ci_u32_e32 v41, vcc_lo, v57, v41, vcc_lo
	v_add_co_u32 v42, vcc_lo, v56, v43
	v_add_co_ci_u32_e32 v43, vcc_lo, v57, v44, vcc_lo
	v_mad_u64_u32 v[50:51], null, s2, v54, 0
	v_mul_u32_u24_e32 v44, 0x32a, v55
	v_mov_b32_e32 v46, v48
	v_mov_b32_e32 v48, v49
	global_store_dwordx4 v[40:41], v[58:61], off
	global_store_dwordx4 v[42:43], v[114:117], off
	v_sub_nc_u32_e32 v49, v53, v44
	v_mov_b32_e32 v42, v51
	v_lshlrev_b64 v[43:44], 4, v[47:48]
	v_add_nc_u32_e32 v52, 0x654, v52
	v_lshlrev_b64 v[40:41], 4, v[45:46]
	v_mad_u32_u24 v55, 0x97e, v55, v49
	v_add_f64 v[88:89], v[104:105], v[166:167]
	v_fma_f64 v[104:105], v[168:169], -0.5, v[64:65]
	v_mad_u64_u32 v[45:46], null, s3, v54, v[42:43]
	v_mad_u64_u32 v[46:47], null, s2, v52, 0
	;; [unrolled: 1-line block ×3, first 2 shown]
	v_add_f64 v[64:65], v[127:128], v[129:130]
	v_fma_f64 v[106:107], v[131:132], -0.5, v[62:63]
	v_add_f64 v[62:63], v[133:134], v[140:141]
	v_add_co_u32 v40, vcc_lo, v56, v40
	v_add_co_ci_u32_e32 v41, vcc_lo, v57, v41, vcc_lo
	v_mov_b32_e32 v51, v45
	v_mov_b32_e32 v42, v47
	v_add_co_u32 v43, vcc_lo, v56, v43
	v_mov_b32_e32 v45, v49
	v_lshlrev_b64 v[49:50], 4, v[50:51]
	v_fma_f64 v[94:95], v[156:157], -0.5, v[200:201]
	v_mad_u64_u32 v[51:52], null, s3, v52, v[42:43]
	v_mad_u64_u32 v[52:53], null, s3, v55, v[45:46]
	v_add_nc_u32_e32 v45, 0x32a, v55
	v_add_nc_u32_e32 v60, 0x1e6, v124
	v_add_co_ci_u32_e32 v44, vcc_lo, v57, v44, vcc_lo
	v_add_co_u32 v53, vcc_lo, v56, v49
	v_mul_hi_u32 v42, 0x50e89cc3, v60
	v_mad_u64_u32 v[58:59], null, s2, v45, 0
	v_mov_b32_e32 v49, v52
	global_store_dwordx4 v[40:41], v[110:113], off
	global_store_dwordx4 v[43:44], v[62:65], off
	v_add_co_ci_u32_e32 v54, vcc_lo, v57, v50, vcc_lo
	v_lshlrev_b64 v[43:44], 4, v[48:49]
	v_mov_b32_e32 v47, v51
	v_lshrrev_b32_e32 v50, 8, v42
	v_mov_b32_e32 v42, v59
	v_add_nc_u32_e32 v51, 0x654, v55
	v_fma_f64 v[4:5], v[34:35], s[8:9], v[38:39]
	v_lshlrev_b64 v[40:41], 4, v[46:47]
	v_mul_u32_u24_e32 v48, 0x32a, v50
	v_mad_u64_u32 v[45:46], null, s3, v45, v[42:43]
	v_fma_f64 v[12:13], v[34:35], s[6:7], v[38:39]
	v_fma_f64 v[38:39], v[92:93], s[6:7], v[94:95]
	;; [unrolled: 1-line block ×11, first 2 shown]
	v_mad_u64_u32 v[46:47], null, s2, v51, 0
	v_sub_nc_u32_e32 v42, v60, v48
	v_add_co_u32 v40, vcc_lo, v56, v40
	v_mov_b32_e32 v59, v45
	v_add_co_ci_u32_e32 v41, vcc_lo, v57, v41, vcc_lo
	v_mad_u32_u24 v55, 0x97e, v50, v42
	v_add_co_u32 v42, vcc_lo, v56, v43
	v_add_co_ci_u32_e32 v43, vcc_lo, v57, v44, vcc_lo
	v_mov_b32_e32 v44, v47
	v_lshlrev_b64 v[47:48], 4, v[58:59]
	v_mad_u64_u32 v[49:50], null, s2, v55, 0
	v_add_nc_u32_e32 v61, 0x237, v124
	v_mad_u64_u32 v[44:45], null, s3, v51, v[44:45]
	v_add_co_u32 v51, vcc_lo, v56, v47
	v_add_nc_u32_e32 v60, 0x32a, v55
	v_add_co_ci_u32_e32 v52, vcc_lo, v57, v48, vcc_lo
	v_mul_hi_u32 v48, 0x50e89cc3, v61
	v_mov_b32_e32 v45, v50
	global_store_dwordx4 v[53:54], v[106:109], off
	v_mad_u64_u32 v[53:54], null, s2, v60, 0
	v_mov_b32_e32 v47, v44
	v_mad_u64_u32 v[58:59], null, s3, v55, v[45:46]
	v_lshrrev_b32_e32 v45, 8, v48
	global_store_dwordx4 v[40:41], v[102:105], off
	global_store_dwordx4 v[42:43], v[86:89], off
	;; [unrolled: 1-line block ×3, first 2 shown]
	v_lshlrev_b64 v[40:41], 4, v[46:47]
	v_mov_b32_e32 v42, v54
	v_add_nc_u32_e32 v51, 0x654, v55
	v_mul_u32_u24_e32 v46, 0x32a, v45
	v_fma_f64 v[137:138], v[152:153], -0.5, v[68:69]
	v_add_f64 v[68:69], v[20:21], v[158:159]
	v_mad_u64_u32 v[42:43], null, s3, v60, v[42:43]
	v_sub_nc_u32_e32 v46, v61, v46
	v_fma_f64 v[90:91], v[162:163], s[6:7], v[150:151]
	v_mov_b32_e32 v50, v58
	v_mad_u64_u32 v[43:44], null, s2, v51, 0
	v_mad_u32_u24 v55, 0x97e, v45, v46
	v_mov_b32_e32 v54, v42
	v_lshlrev_b64 v[45:46], 4, v[49:50]
	v_add_nc_u32_e32 v58, 0x288, v124
	v_add_co_u32 v40, vcc_lo, v56, v40
	v_mad_u64_u32 v[47:48], null, s2, v55, 0
	v_mov_b32_e32 v42, v44
	v_lshlrev_b64 v[49:50], 4, v[53:54]
	v_add_co_ci_u32_e32 v41, vcc_lo, v57, v41, vcc_lo
	v_add_co_u32 v45, vcc_lo, v56, v45
	v_mul_hi_u32 v54, 0x50e89cc3, v58
	v_add_co_ci_u32_e32 v46, vcc_lo, v57, v46, vcc_lo
	v_mad_u64_u32 v[51:52], null, s3, v51, v[42:43]
	v_mov_b32_e32 v42, v48
	v_add_co_u32 v48, vcc_lo, v56, v49
	v_add_co_ci_u32_e32 v49, vcc_lo, v57, v50, vcc_lo
	global_store_dwordx4 v[40:41], v[94:97], off
	global_store_dwordx4 v[45:46], v[66:69], off
	;; [unrolled: 1-line block ×3, first 2 shown]
	v_lshrrev_b32_e32 v49, 8, v54
	v_mad_u64_u32 v[52:53], null, s3, v55, v[42:43]
	v_mov_b32_e32 v44, v51
	v_add_nc_u32_e32 v50, 0x32a, v55
	v_add_nc_u32_e32 v51, 0x654, v55
	v_mul_u32_u24_e32 v46, 0x32a, v49
	v_fma_f64 v[16:17], v[32:33], s[8:9], v[36:37]
	v_lshlrev_b64 v[40:41], 4, v[43:44]
	v_mad_u64_u32 v[42:43], null, s2, v50, 0
	v_mad_u64_u32 v[44:45], null, s2, v51, 0
	v_fma_f64 v[20:21], v[32:33], s[6:7], v[36:37]
	v_fma_f64 v[36:37], v[162:163], s[8:9], v[150:151]
	v_mov_b32_e32 v48, v52
	v_sub_nc_u32_e32 v52, v58, v46
	v_add_nc_u32_e32 v53, 0x2d9, v124
	v_add_co_u32 v40, vcc_lo, v56, v40
	v_lshlrev_b64 v[46:47], 4, v[47:48]
	v_mad_u32_u24 v52, 0x97e, v49, v52
	v_mad_u64_u32 v[48:49], null, s3, v50, v[43:44]
	v_fma_f64 v[34:35], v[135:136], s[8:9], v[148:149]
	v_fma_f64 v[32:33], v[154:155], s[6:7], v[137:138]
	v_mad_u64_u32 v[49:50], null, s3, v51, v[45:46]
	v_add_co_ci_u32_e32 v41, vcc_lo, v57, v41, vcc_lo
	v_mov_b32_e32 v43, v48
	v_mul_hi_u32 v48, 0x50e89cc3, v53
	v_mad_u64_u32 v[50:51], null, s2, v52, 0
	v_add_co_u32 v46, vcc_lo, v56, v46
	v_add_co_ci_u32_e32 v47, vcc_lo, v57, v47, vcc_lo
	v_fma_f64 v[30:31], v[135:136], s[6:7], v[148:149]
	v_fma_f64 v[28:29], v[154:155], s[8:9], v[137:138]
	global_store_dwordx4 v[40:41], v[36:39], off
	v_lshrrev_b32_e32 v38, 8, v48
	v_mov_b32_e32 v45, v49
	v_mov_b32_e32 v36, v51
	global_store_dwordx4 v[46:47], v[24:27], off
	v_lshlrev_b64 v[24:25], 4, v[42:43]
	v_mul_u32_u24_e32 v40, 0x32a, v38
	v_lshlrev_b64 v[26:27], 4, v[44:45]
	v_mad_u64_u32 v[36:37], null, s3, v52, v[36:37]
	v_add_nc_u32_e32 v39, 0x32a, v52
	v_add_co_u32 v24, vcc_lo, v56, v24
	v_add_co_ci_u32_e32 v25, vcc_lo, v57, v25, vcc_lo
	v_sub_nc_u32_e32 v40, v53, v40
	v_add_co_u32 v26, vcc_lo, v56, v26
	v_add_co_ci_u32_e32 v27, vcc_lo, v57, v27, vcc_lo
	v_mov_b32_e32 v51, v36
	v_mad_u64_u32 v[36:37], null, s2, v39, 0
	global_store_dwordx4 v[24:25], v[32:35], off
	v_mad_u32_u24 v34, 0x97e, v38, v40
	global_store_dwordx4 v[26:27], v[28:31], off
	v_add_nc_u32_e32 v33, 0x654, v52
	v_lshlrev_b64 v[24:25], 4, v[50:51]
	v_mad_u64_u32 v[29:30], null, s2, v34, 0
	v_mov_b32_e32 v28, v37
	v_mad_u64_u32 v[26:27], null, s2, v33, 0
	v_add_nc_u32_e32 v40, 0x32a, v34
	v_add_co_u32 v24, vcc_lo, v56, v24
	v_mad_u64_u32 v[31:32], null, s3, v39, v[28:29]
	v_add_nc_u32_e32 v41, 0x654, v34
	v_mad_u64_u32 v[27:28], null, s3, v33, v[27:28]
	v_mad_u64_u32 v[32:33], null, s2, v40, 0
	v_add_co_ci_u32_e32 v25, vcc_lo, v57, v25, vcc_lo
	v_mov_b32_e32 v37, v31
	v_mov_b32_e32 v28, v30
	v_mad_u64_u32 v[38:39], null, s2, v41, 0
	global_store_dwordx4 v[24:25], v[8:11], off
	v_lshlrev_b64 v[9:10], 4, v[36:37]
	v_mov_b32_e32 v8, v33
	v_mad_u64_u32 v[34:35], null, s3, v34, v[28:29]
	v_mad_u64_u32 v[24:25], null, s3, v40, v[8:9]
	v_mov_b32_e32 v8, v39
	v_add_co_u32 v9, vcc_lo, v56, v9
	v_mov_b32_e32 v30, v34
	v_lshlrev_b64 v[25:26], 4, v[26:27]
	v_add_co_ci_u32_e32 v10, vcc_lo, v57, v10, vcc_lo
	v_mad_u64_u32 v[27:28], null, s3, v41, v[8:9]
	v_lshlrev_b64 v[28:29], 4, v[29:30]
	v_mov_b32_e32 v33, v24
	v_add_co_u32 v24, vcc_lo, v56, v25
	v_add_co_ci_u32_e32 v25, vcc_lo, v57, v26, vcc_lo
	v_mov_b32_e32 v39, v27
	v_lshlrev_b64 v[30:31], 4, v[32:33]
	v_add_co_u32 v26, vcc_lo, v56, v28
	v_add_co_ci_u32_e32 v27, vcc_lo, v57, v29, vcc_lo
	v_lshlrev_b64 v[28:29], 4, v[38:39]
	v_add_co_u32 v30, vcc_lo, v56, v30
	v_add_co_ci_u32_e32 v31, vcc_lo, v57, v31, vcc_lo
	v_add_co_u32 v28, vcc_lo, v56, v28
	v_add_co_ci_u32_e32 v29, vcc_lo, v57, v29, vcc_lo
	global_store_dwordx4 v[9:10], v[20:23], off
	global_store_dwordx4 v[24:25], v[16:19], off
	;; [unrolled: 1-line block ×5, first 2 shown]
.LBB0_15:
	s_endpgm
	.section	.rodata,"a",@progbits
	.p2align	6, 0x0
	.amdhsa_kernel fft_rtc_fwd_len2430_factors_10_3_3_3_3_3_wgs_81_tpt_81_halfLds_dp_op_CI_CI_sbrr_dirReg
		.amdhsa_group_segment_fixed_size 0
		.amdhsa_private_segment_fixed_size 0
		.amdhsa_kernarg_size 104
		.amdhsa_user_sgpr_count 6
		.amdhsa_user_sgpr_private_segment_buffer 1
		.amdhsa_user_sgpr_dispatch_ptr 0
		.amdhsa_user_sgpr_queue_ptr 0
		.amdhsa_user_sgpr_kernarg_segment_ptr 1
		.amdhsa_user_sgpr_dispatch_id 0
		.amdhsa_user_sgpr_flat_scratch_init 0
		.amdhsa_user_sgpr_private_segment_size 0
		.amdhsa_wavefront_size32 1
		.amdhsa_uses_dynamic_stack 0
		.amdhsa_system_sgpr_private_segment_wavefront_offset 0
		.amdhsa_system_sgpr_workgroup_id_x 1
		.amdhsa_system_sgpr_workgroup_id_y 0
		.amdhsa_system_sgpr_workgroup_id_z 0
		.amdhsa_system_sgpr_workgroup_info 0
		.amdhsa_system_vgpr_workitem_id 0
		.amdhsa_next_free_vgpr 245
		.amdhsa_next_free_sgpr 31
		.amdhsa_reserve_vcc 1
		.amdhsa_reserve_flat_scratch 0
		.amdhsa_float_round_mode_32 0
		.amdhsa_float_round_mode_16_64 0
		.amdhsa_float_denorm_mode_32 3
		.amdhsa_float_denorm_mode_16_64 3
		.amdhsa_dx10_clamp 1
		.amdhsa_ieee_mode 1
		.amdhsa_fp16_overflow 0
		.amdhsa_workgroup_processor_mode 1
		.amdhsa_memory_ordered 1
		.amdhsa_forward_progress 0
		.amdhsa_shared_vgpr_count 0
		.amdhsa_exception_fp_ieee_invalid_op 0
		.amdhsa_exception_fp_denorm_src 0
		.amdhsa_exception_fp_ieee_div_zero 0
		.amdhsa_exception_fp_ieee_overflow 0
		.amdhsa_exception_fp_ieee_underflow 0
		.amdhsa_exception_fp_ieee_inexact 0
		.amdhsa_exception_int_div_zero 0
	.end_amdhsa_kernel
	.text
.Lfunc_end0:
	.size	fft_rtc_fwd_len2430_factors_10_3_3_3_3_3_wgs_81_tpt_81_halfLds_dp_op_CI_CI_sbrr_dirReg, .Lfunc_end0-fft_rtc_fwd_len2430_factors_10_3_3_3_3_3_wgs_81_tpt_81_halfLds_dp_op_CI_CI_sbrr_dirReg
                                        ; -- End function
	.section	.AMDGPU.csdata,"",@progbits
; Kernel info:
; codeLenInByte = 26464
; NumSgprs: 33
; NumVgprs: 245
; ScratchSize: 0
; MemoryBound: 1
; FloatMode: 240
; IeeeMode: 1
; LDSByteSize: 0 bytes/workgroup (compile time only)
; SGPRBlocks: 4
; VGPRBlocks: 30
; NumSGPRsForWavesPerEU: 33
; NumVGPRsForWavesPerEU: 245
; Occupancy: 4
; WaveLimiterHint : 1
; COMPUTE_PGM_RSRC2:SCRATCH_EN: 0
; COMPUTE_PGM_RSRC2:USER_SGPR: 6
; COMPUTE_PGM_RSRC2:TRAP_HANDLER: 0
; COMPUTE_PGM_RSRC2:TGID_X_EN: 1
; COMPUTE_PGM_RSRC2:TGID_Y_EN: 0
; COMPUTE_PGM_RSRC2:TGID_Z_EN: 0
; COMPUTE_PGM_RSRC2:TIDIG_COMP_CNT: 0
	.text
	.p2alignl 6, 3214868480
	.fill 48, 4, 3214868480
	.type	__hip_cuid_c96d5e1e11dc9a00,@object ; @__hip_cuid_c96d5e1e11dc9a00
	.section	.bss,"aw",@nobits
	.globl	__hip_cuid_c96d5e1e11dc9a00
__hip_cuid_c96d5e1e11dc9a00:
	.byte	0                               ; 0x0
	.size	__hip_cuid_c96d5e1e11dc9a00, 1

	.ident	"AMD clang version 19.0.0git (https://github.com/RadeonOpenCompute/llvm-project roc-6.4.0 25133 c7fe45cf4b819c5991fe208aaa96edf142730f1d)"
	.section	".note.GNU-stack","",@progbits
	.addrsig
	.addrsig_sym __hip_cuid_c96d5e1e11dc9a00
	.amdgpu_metadata
---
amdhsa.kernels:
  - .args:
      - .actual_access:  read_only
        .address_space:  global
        .offset:         0
        .size:           8
        .value_kind:     global_buffer
      - .offset:         8
        .size:           8
        .value_kind:     by_value
      - .actual_access:  read_only
        .address_space:  global
        .offset:         16
        .size:           8
        .value_kind:     global_buffer
      - .actual_access:  read_only
        .address_space:  global
        .offset:         24
        .size:           8
        .value_kind:     global_buffer
      - .actual_access:  read_only
        .address_space:  global
        .offset:         32
        .size:           8
        .value_kind:     global_buffer
      - .offset:         40
        .size:           8
        .value_kind:     by_value
      - .actual_access:  read_only
        .address_space:  global
        .offset:         48
        .size:           8
        .value_kind:     global_buffer
      - .actual_access:  read_only
        .address_space:  global
        .offset:         56
        .size:           8
        .value_kind:     global_buffer
      - .offset:         64
        .size:           4
        .value_kind:     by_value
      - .actual_access:  read_only
        .address_space:  global
        .offset:         72
        .size:           8
        .value_kind:     global_buffer
      - .actual_access:  read_only
        .address_space:  global
        .offset:         80
        .size:           8
        .value_kind:     global_buffer
      - .actual_access:  read_only
        .address_space:  global
        .offset:         88
        .size:           8
        .value_kind:     global_buffer
      - .actual_access:  write_only
        .address_space:  global
        .offset:         96
        .size:           8
        .value_kind:     global_buffer
    .group_segment_fixed_size: 0
    .kernarg_segment_align: 8
    .kernarg_segment_size: 104
    .language:       OpenCL C
    .language_version:
      - 2
      - 0
    .max_flat_workgroup_size: 81
    .name:           fft_rtc_fwd_len2430_factors_10_3_3_3_3_3_wgs_81_tpt_81_halfLds_dp_op_CI_CI_sbrr_dirReg
    .private_segment_fixed_size: 0
    .sgpr_count:     33
    .sgpr_spill_count: 0
    .symbol:         fft_rtc_fwd_len2430_factors_10_3_3_3_3_3_wgs_81_tpt_81_halfLds_dp_op_CI_CI_sbrr_dirReg.kd
    .uniform_work_group_size: 1
    .uses_dynamic_stack: false
    .vgpr_count:     245
    .vgpr_spill_count: 0
    .wavefront_size: 32
    .workgroup_processor_mode: 1
amdhsa.target:   amdgcn-amd-amdhsa--gfx1030
amdhsa.version:
  - 1
  - 2
...

	.end_amdgpu_metadata
